;; amdgpu-corpus repo=ROCm/aiter kind=harvested arch=n/a opt=n/a

/root/src/amdgpu-assembly/repos/ROCm__aiter/hsa/gfx942/bf16gemm/bf16gemm_fp32bf16_tn_48x64_pf3_splitk.co:	file format elf64-amdgpu

Disassembly of section .text:

0000000000002900 <_ZN5aiter37bf16gemm_fp32bf16_tn_48x64_pf3_splitkE>:
	s_mov_b32 s49, s4                                          // 000000002900: BEB10004
	s_and_b32 s1, s1, 0xffff                                   // 000000002904: 8601FF01 0000FFFF
	s_load_dword s25, s[0:1], 0xe0                             // 00000000290C: C0020640 000000E0
	s_load_dword s26, s[0:1], 0xf0                             // 000000002914: C0020680 000000F0
	s_load_dword s27, s[0:1], 0x100                            // 00000000291C: C00206C0 00000100
	s_load_dword s28, s[0:1], 0xa0                             // 000000002924: C0020700 000000A0
	s_load_dword s29, s[0:1], 0xc0                             // 00000000292C: C0020740 000000C0
	s_load_dword s30, s[0:1], 0x80                             // 000000002934: C0020780 00000080
	s_load_dword s20, s[0:1], 0x40                             // 00000000293C: C0020500 00000040
	s_load_dword s21, s[0:1], 0x50                             // 000000002944: C0020540 00000050
	s_load_dwordx2 s[4:5], s[0:1], 0x20                        // 00000000294C: C0060100 00000020
	s_load_dwordx2 s[8:9], s[0:1], 0x30                        // 000000002954: C0060200 00000030
	s_load_dwordx2 s[12:13], s[0:1], 0x10                      // 00000000295C: C0060300 00000010
	s_load_dwordx2 s[16:17], s[0:1], 0x0                       // 000000002964: C0060400 00000000
	s_load_dword s48, s[0:1], 0x110                            // 00000000296C: C0020C00 00000110
	s_load_dword s50, s[0:1], 0x120                            // 000000002974: C0020C80 00000120
	s_load_dwordx2 s[36:37], s[0:1], 0x130                     // 00000000297C: C0060900 00000130
	s_load_dword s57, s[0:1], 0x140                            // 000000002984: C0020E40 00000140
	v_lshrrev_b32_e32 v1, 10, v0                               // 00000000298C: 2002008A
	v_lshrrev_b32_e32 v2, 10, v1                               // 000000002990: 2004028A
	v_and_b32_e32 v2, 0x3ff, v2                                // 000000002994: 260404FF 000003FF
	v_and_b32_e32 v1, 0x3ff, v1                                // 00000000299C: 260202FF 000003FF
	v_and_b32_e32 v0, 0x3ff, v0                                // 0000000029A4: 260000FF 000003FF
	v_lshrrev_b32_e32 v3, 6, v0                                // 0000000029AC: 20060086
	v_and_b32_e32 v0, 63, v0                                   // 0000000029B0: 260000BF
	s_mov_b32 s22, s2                                          // 0000000029B4: BE960002
	s_mov_b32 s23, s3                                          // 0000000029B8: BE970003
	v_readfirstlane_b32 s24, v3                                // 0000000029BC: 7E300503
	s_waitcnt lgkmcnt(0)                                       // 0000000029C0: BF8CC07F
	s_mov_b32 s18, -16                                         // 0000000029C4: BE9200D0
	s_mov_b32 s14, -16                                         // 0000000029C8: BE8E00D0
	s_mov_b32 s10, -16                                         // 0000000029CC: BE8A00D0
	s_mov_b32 s6, -16                                          // 0000000029D0: BE8600D0
	s_mov_b32 s38, -16                                         // 0000000029D4: BEA600D0
	s_mov_b32 s19, 0x20000                                     // 0000000029D8: BE9300FF 00020000
	s_mov_b32 s15, 0x20000                                     // 0000000029E0: BE8F00FF 00020000
	s_mov_b32 s11, 0x20000                                     // 0000000029E8: BE8B00FF 00020000
	s_mov_b32 s7, 0x20000                                      // 0000000029F0: BE8700FF 00020000
	s_mov_b32 s39, 0x20000                                     // 0000000029F8: BEA700FF 00020000
	s_and_b32 s17, s17, 0xffff                                 // 000000002A00: 8611FF11 0000FFFF
	s_and_b32 s13, s13, 0xffff                                 // 000000002A08: 860DFF0D 0000FFFF
	s_and_b32 s9, s9, 0xffff                                   // 000000002A10: 8609FF09 0000FFFF
	s_and_b32 s5, s5, 0xffff                                   // 000000002A18: 8605FF05 0000FFFF
	s_and_b32 s37, s37, 0xffff                                 // 000000002A20: 8625FF25 0000FFFF
	s_or_b32 s17, s17, 0x40000                                 // 000000002A28: 8711FF11 00040000
	s_or_b32 s13, s13, 0x40000                                 // 000000002A30: 870DFF0D 00040000
	s_or_b32 s9, s9, 0x40000                                   // 000000002A38: 8709FF09 00040000
	s_or_b32 s5, s5, 0x40000                                   // 000000002A40: 8705FF05 00040000
	s_or_b32 s37, s37, 0x40000                                 // 000000002A48: 8725FF25 00040000
	s_mov_b32 s35, 0x7060302                                   // 000000002A50: BEA300FF 07060302
	v_mov_b32_e32 v9, 0xffff0000                               // 000000002A58: 7E1202FF FFFF0000
	v_mov_b32_e32 v10, 0x7fff0000                              // 000000002A60: 7E1402FF 7FFF0000
	v_mov_b32_e32 v11, 0x7fff                                  // 000000002A68: 7E1602FF 00007FFF
	s_mul_i32 s31, s28, s25                                    // 000000002A70: 921F191C
	s_mov_b32 s6, s31                                          // 000000002A74: BE86001F
	s_mov_b32 s40, 0x80                                        // 000000002A78: BEA800FF 00000080
	v_lshrrev_b32_e32 v4, 5, v0                                // 000000002A80: 20080085
	v_lshlrev_b32_e32 v4, 2, v4                                // 000000002A84: 24080882
	v_mul_lo_u32 v16, v4, s28                                  // 000000002A88: D2850010 00003904
	v_and_b32_e32 v4, 31, v0                                   // 000000002A90: 2608009F
	v_lshlrev_b32_e32 v4, 2, v4                                // 000000002A94: 24080882
	v_add_u32_e32 v16, v16, v4                                 // 000000002A98: 68200910
	s_mul_i32 s31, 8, s28                                      // 000000002A9C: 921F1C88
	v_add_u32_e64 v17, v16, s31                                // 000000002AA0: D1340011 00003F10
	v_add_u32_e64 v18, v17, s31                                // 000000002AA8: D1340012 00003F11
	v_add_u32_e64 v19, v18, s31                                // 000000002AB0: D1340013 00003F12
	v_add_u32_e64 v20, v19, s31                                // 000000002AB8: D1340014 00003F13
	v_add_u32_e64 v21, v20, s31                                // 000000002AC0: D1340015 00003F14
	s_mul_i32 s31, s23, 48                                     // 000000002AC8: 921FB017
	s_add_u32 s31, s31, s24                                    // 000000002ACC: 801F181F
	s_mul_i32 s32, s31, s28                                    // 000000002AD0: 92201C1F
	v_add_u32_e64 v16, v16, s32                                // 000000002AD4: D1340010 00004110
	v_add_u32_e64 v17, v17, s32                                // 000000002ADC: D1340011 00004111
	v_add_u32_e64 v18, v18, s32                                // 000000002AE4: D1340012 00004112
	v_add_u32_e64 v19, v19, s32                                // 000000002AEC: D1340013 00004113
	v_add_u32_e64 v20, v20, s32                                // 000000002AF4: D1340014 00004114
	v_add_u32_e64 v21, v21, s32                                // 000000002AFC: D1340015 00004115
	v_lshrrev_b32_e32 v4, 4, v0                                // 000000002B04: 20080084
	v_lshlrev_b32_e32 v5, 2, v4                                // 000000002B08: 240A0882
	v_and_b32_e32 v4, 15, v0                                   // 000000002B0C: 2608008F
	v_lshrrev_b32_e32 v6, 2, v4                                // 000000002B10: 200C0882
	v_lshlrev_b32_e32 v6, 5, v6                                // 000000002B14: 240C0C85
	v_add_u32_e32 v5, v6, v5                                   // 000000002B18: 680A0B06
	v_and_b32_e32 v4, 3, v0                                    // 000000002B1C: 26080083
	v_mul_u32_u24_e32 v6, 0x188, v4                            // 000000002B20: 100C08FF 00000188
	v_add_u32_e32 v5, v6, v5                                   // 000000002B28: 680A0B06
	v_lshlrev_b32_e32 v22, 2, v5                               // 000000002B2C: 242C0A82
	s_mul_i32 s31, s24, 0x620                                  // 000000002B30: 921FFF18 00000620
	s_add_u32 s42, 0, s31                                      // 000000002B38: 802A1F80
	s_add_u32 s43, 0x1880, s42                                 // 000000002B3C: 802B2AFF 00001880
	s_add_u32 s44, 0x1880, s43                                 // 000000002B44: 802C2BFF 00001880
	s_mul_i32 s31, s29, s26                                    // 000000002B4C: 921F1A1D
	s_mov_b32 s10, s31                                         // 000000002B50: BE8A001F
	s_mov_b32 s41, 0x80                                        // 000000002B54: BEA900FF 00000080
	v_lshrrev_b32_e32 v4, 5, v0                                // 000000002B5C: 20080085
	v_lshlrev_b32_e32 v4, 2, v4                                // 000000002B60: 24080882
	v_mul_lo_u32 v23, v4, s29                                  // 000000002B64: D2850017 00003B04
	v_and_b32_e32 v4, 31, v0                                   // 000000002B6C: 2608009F
	v_lshlrev_b32_e32 v4, 2, v4                                // 000000002B70: 24080882
	v_add_u32_e32 v23, v23, v4                                 // 000000002B74: 682E0917
	s_mul_i32 s31, 8, s29                                      // 000000002B78: 921F1D88
	v_add_u32_e64 v24, v23, s31                                // 000000002B7C: D1340018 00003F17
	v_add_u32_e64 v25, v24, s31                                // 000000002B84: D1340019 00003F18
	v_add_u32_e64 v26, v25, s31                                // 000000002B8C: D134001A 00003F19
	v_add_u32_e64 v27, v26, s31                                // 000000002B94: D134001B 00003F1A
	v_add_u32_e64 v28, v27, s31                                // 000000002B9C: D134001C 00003F1B
	v_add_u32_e64 v29, v28, s31                                // 000000002BA4: D134001D 00003F1C
	v_add_u32_e64 v30, v29, s31                                // 000000002BAC: D134001E 00003F1D
	s_mul_i32 s31, s22, 64                                     // 000000002BB4: 921FC016
	s_add_u32 s31, s31, s24                                    // 000000002BB8: 801F181F
	s_mul_i32 s32, s31, s29                                    // 000000002BBC: 92201D1F
	v_add_u32_e64 v23, v23, s32                                // 000000002BC0: D1340017 00004117
	v_add_u32_e64 v24, v24, s32                                // 000000002BC8: D1340018 00004118
	v_add_u32_e64 v25, v25, s32                                // 000000002BD0: D1340019 00004119
	v_add_u32_e64 v26, v26, s32                                // 000000002BD8: D134001A 0000411A
	v_add_u32_e64 v27, v27, s32                                // 000000002BE0: D134001B 0000411B
	v_add_u32_e64 v28, v28, s32                                // 000000002BE8: D134001C 0000411C
	v_add_u32_e64 v29, v29, s32                                // 000000002BF0: D134001D 0000411D
	v_add_u32_e64 v30, v30, s32                                // 000000002BF8: D134001E 0000411E
	s_cmp_le_u32 s48, 1                                        // 000000002C00: BF0B8130
	s_cbranch_scc1 label_0107                                  // 000000002C04: BF850045
	s_lshr_b32 s32, s27, 6                                     // 000000002C08: 8F20861B
	v_cvt_f32_u32_e32 v4, s48                                  // 000000002C0C: 7E080C30
	s_sub_i32 s31, 0, s48                                      // 000000002C10: 819F3080
	v_rcp_iflag_f32_e32 v4, v4                                 // 000000002C14: 7E084704
	s_nop 0                                                    // 000000002C18: BF800000
	v_mul_f32_e32 v4, 0x4f7ffffe, v4                           // 000000002C1C: 0A0808FF 4F7FFFFE
	v_cvt_u32_f32_e32 v4, v4                                   // 000000002C24: 7E080F04
	v_mul_lo_u32 v5, s31, v4                                   // 000000002C28: D2850005 0002081F
	v_mul_hi_u32 v5, v4, v5                                    // 000000002C30: D2860005 00020B04
	v_add_u32_e32 v4, v4, v5                                   // 000000002C38: 68080B04
	v_mul_hi_u32 v4, s32, v4                                   // 000000002C3C: D2860004 00020820
	v_mul_lo_u32 v5, v4, s48                                   // 000000002C44: D2850005 00006104
	v_sub_u32_e32 v7, s32, v5                                  // 000000002C4C: 6A0E0A20
	v_add_u32_e32 v6, 1, v4                                    // 000000002C50: 680C0881
	v_cmp_le_u32_e32 vcc, s48, v7                              // 000000002C54: 7D960E30
	v_subrev_u32_e32 v5, s48, v7                               // 000000002C58: 6C0A0E30
	s_nop 0                                                    // 000000002C5C: BF800000
	v_cndmask_b32_e32 v4, v4, v6, vcc                          // 000000002C60: 00080D04
	v_cndmask_b32_e32 v7, v7, v5, vcc                          // 000000002C64: 000E0B07
	v_add_u32_e32 v5, 1, v4                                    // 000000002C68: 680A0881
	v_cmp_le_u32_e32 vcc, s48, v7                              // 000000002C6C: 7D960E30
	s_nop 1                                                    // 000000002C70: BF800001
	v_cndmask_b32_e32 v7, v4, v5, vcc                          // 000000002C74: 000E0B04
	s_nop 3                                                    // 000000002C78: BF800003
	v_readfirstlane_b32 s32, v7                                // 000000002C7C: 7E400507
	s_nop 3                                                    // 000000002C80: BF800003
	s_mul_i32 s32, s32, 64                                     // 000000002C84: 9220C020
	s_mul_i32 s31, s49, s32                                    // 000000002C88: 921F2031
	s_sub_i32 s52, s27, s31                                    // 000000002C8C: 81B41F1B
	s_sub_i32 s31, s48, 1                                      // 000000002C90: 819F8130
	s_cmp_eq_i32 s49, s31                                      // 000000002C94: BF001F31
	s_cselect_b32 s27, s52, s32                                // 000000002C98: 851B2034
	s_mul_i32 s31, s32, 2                                      // 000000002C9C: 921F8220
	s_mul_i32 s31, s31, s49                                    // 000000002CA0: 921F311F
	v_add_u32_e64 v16, v16, s31                                // 000000002CA4: D1340010 00003F10
	v_add_u32_e64 v17, v17, s31                                // 000000002CAC: D1340011 00003F11
	v_add_u32_e64 v18, v18, s31                                // 000000002CB4: D1340012 00003F12
	v_add_u32_e64 v19, v19, s31                                // 000000002CBC: D1340013 00003F13
	v_add_u32_e64 v20, v20, s31                                // 000000002CC4: D1340014 00003F14
	v_add_u32_e64 v21, v21, s31                                // 000000002CCC: D1340015 00003F15
	s_mul_i32 s31, s32, 2                                      // 000000002CD4: 921F8220
	s_mul_i32 s31, s31, s49                                    // 000000002CD8: 921F311F
	v_add_u32_e64 v23, v23, s31                                // 000000002CDC: D1340017 00003F17
	v_add_u32_e64 v24, v24, s31                                // 000000002CE4: D1340018 00003F18
	v_add_u32_e64 v25, v25, s31                                // 000000002CEC: D1340019 00003F19
	v_add_u32_e64 v26, v26, s31                                // 000000002CF4: D134001A 00003F1A
	v_add_u32_e64 v27, v27, s31                                // 000000002CFC: D134001B 00003F1B
	v_add_u32_e64 v28, v28, s31                                // 000000002D04: D134001C 00003F1C
	v_add_u32_e64 v29, v29, s31                                // 000000002D0C: D134001D 00003F1D
	v_add_u32_e64 v30, v30, s31                                // 000000002D14: D134001E 00003F1E

0000000000002d1c <label_0107>:
	v_lshrrev_b32_e32 v4, 4, v0                                // 000000002D1C: 20080084
	v_lshlrev_b32_e32 v5, 2, v4                                // 000000002D20: 240A0882
	v_and_b32_e32 v4, 15, v0                                   // 000000002D24: 2608008F
	v_lshrrev_b32_e32 v6, 2, v4                                // 000000002D28: 200C0882
	v_lshlrev_b32_e32 v6, 5, v6                                // 000000002D2C: 240C0C85
	v_add_u32_e32 v5, v6, v5                                   // 000000002D30: 680A0B06
	v_and_b32_e32 v4, 3, v0                                    // 000000002D34: 26080083
	v_mul_u32_u24_e32 v6, 0x208, v4                            // 000000002D38: 100C08FF 00000208
	v_add_u32_e32 v5, v6, v5                                   // 000000002D40: 680A0B06
	v_lshlrev_b32_e32 v31, 2, v5                               // 000000002D44: 243E0A82
	s_mul_i32 s31, s24, 0x200                                  // 000000002D48: 921FFF18 00000200
	v_add_u32_e32 v31, s31, v31                                // 000000002D50: 683E3E1F
	s_mul_i32 s31, s24, 0x820                                  // 000000002D54: 921FFF18 00000820
	s_add_u32 s45, 0x4980, s31                                 // 000000002D5C: 802D1FFF 00004980
	s_add_u32 s46, 0x2080, s45                                 // 000000002D64: 802E2DFF 00002080
	s_add_u32 s47, 0x2080, s46                                 // 000000002D6C: 802F2EFF 00002080
	s_mul_i32 s31, s30, s25                                    // 000000002D74: 921F191E
	s_mov_b32 s18, s31                                         // 000000002D78: BE92001F
	s_cmp_lt_u32 s50, 1                                        // 000000002D7C: BF0A8132
	s_cbranch_scc0 label_013C                                  // 000000002D80: BF84001B
	v_and_b32_e64 v12, v0, 15                                  // 000000002D84: D113000C 00011F00
	v_mul_lo_u32 v12, v12, s30                                 // 000000002D8C: D285000C 00003D0C
	v_lshrrev_b32_e32 v4, 4, v0                                // 000000002D94: 20080084
	v_mul_i32_i24_e32 v4, 16, v4                               // 000000002D98: 0C080890
	v_add_u32_e32 v12, v4, v12                                 // 000000002D9C: 68181904
	s_mul_i32 s31, s23, 48                                     // 000000002DA0: 921FB017
	s_mul_i32 s31, s31, s30                                    // 000000002DA4: 921F1E1F
	v_add_u32_e32 v12, s31, v12                                // 000000002DA8: 6818181F
	s_mul_i32 s31, s22, 64                                     // 000000002DAC: 921FC016
	s_mul_i32 s31, s31, 4                                      // 000000002DB0: 921F841F
	v_add_u32_e32 v12, s31, v12                                // 000000002DB4: 6818181F
	s_mul_i32 s31, 64, s24                                     // 000000002DB8: 921F18C0
	v_add_u32_e32 v12, s31, v12                                // 000000002DBC: 6818181F
	s_mul_i32 s31, 16, s30                                     // 000000002DC0: 921F1E90
	v_add_u32_e32 v13, s31, v12                                // 000000002DC4: 681A181F
	v_add_u32_e32 v14, s31, v13                                // 000000002DC8: 681C1A1F
	s_mul_i32 s31, s23, 48                                     // 000000002DCC: 921FB017
	s_add_i32 s31, s31, s24                                    // 000000002DD0: 811F181F
	s_mul_i32 s31, s31, s30                                    // 000000002DD4: 921F1E1F
	s_mul_i32 s32, s22, 64                                     // 000000002DD8: 9220C016
	s_mul_i32 s32, s32, 4                                      // 000000002DDC: 92208420
	s_add_i32 s31, s31, s32                                    // 000000002DE0: 811F201F
	v_lshlrev_b32_e32 v15, 2, v0                               // 000000002DE4: 241E0082
	v_add_u32_e32 v15, s31, v15                                // 000000002DE8: 681E1E1F
	s_branch label_015C                                        // 000000002DEC: BF820020

0000000000002df0 <label_013C>:
	v_and_b32_e64 v12, v0, 15                                  // 000000002DF0: D113000C 00011F00
	v_mul_lo_u32 v12, v12, s30                                 // 000000002DF8: D285000C 00003D0C
	v_lshrrev_b32_e32 v4, 4, v0                                // 000000002E00: 20080084
	v_mul_i32_i24_e32 v4, 8, v4                                // 000000002E04: 0C080888
	v_add_u32_e32 v12, v4, v12                                 // 000000002E08: 68181904
	s_mul_i32 s31, s23, 48                                     // 000000002E0C: 921FB017
	s_mul_i32 s31, s31, s30                                    // 000000002E10: 921F1E1F
	v_add_u32_e32 v12, s31, v12                                // 000000002E14: 6818181F
	s_mul_i32 s31, s22, 64                                     // 000000002E18: 921FC016
	s_mul_i32 s31, s31, 2                                      // 000000002E1C: 921F821F
	v_add_u32_e32 v12, s31, v12                                // 000000002E20: 6818181F
	s_mul_i32 s31, 32, s24                                     // 000000002E24: 921F18A0
	v_add_u32_e32 v12, s31, v12                                // 000000002E28: 6818181F
	s_mul_i32 s31, 16, s30                                     // 000000002E2C: 921F1E90
	v_add_u32_e32 v13, s31, v12                                // 000000002E30: 681A181F
	v_add_u32_e32 v14, s31, v13                                // 000000002E34: 681C1A1F
	s_mul_i32 s31, s23, 48                                     // 000000002E38: 921FB017
	s_add_i32 s31, s31, s24                                    // 000000002E3C: 811F181F
	s_mul_i32 s31, s31, s30                                    // 000000002E40: 921F1E1F
	s_mul_i32 s32, s22, 64                                     // 000000002E44: 9220C016
	s_mul_i32 s32, s32, 2                                      // 000000002E48: 92208220
	s_add_i32 s31, s31, s32                                    // 000000002E4C: 811F201F
	v_lshrrev_b32_e32 v4, 5, v0                                // 000000002E50: 20080085
	s_mul_i32 s32, s30, 4                                      // 000000002E54: 9220841E
	v_mul_lo_u32 v4, v4, s32                                   // 000000002E58: D2850004 00004104
	v_and_b32_e32 v5, 31, v0                                   // 000000002E60: 260A009F
	v_lshlrev_b32_e32 v5, 2, v5                                // 000000002E64: 240A0A82
	v_add_u32_e32 v15, v4, v5                                  // 000000002E68: 681E0B04
	v_add_u32_e32 v15, s31, v15                                // 000000002E6C: 681E1E1F

0000000000002e70 <label_015C>:
	s_cmp_eq_u32 s57, 1                                        // 000000002E70: BF068139
	s_cbranch_scc0 label_018B                                  // 000000002E74: BF84002D
	s_cmp_eq_i32 s49, 0                                        // 000000002E78: BF008031
	s_cbranch_scc0 label_018B                                  // 000000002E7C: BF84002B
	s_mul_i32 s31, 2, s26                                      // 000000002E80: 921F1A82
	s_mov_b32 s38, s31                                         // 000000002E84: BEA6001F
	v_lshrrev_b32_e32 v4, 4, v0                                // 000000002E88: 20080084
	v_mul_i32_i24_e32 v50, 8, v4                               // 000000002E8C: 0C640888
	s_mul_i32 s31, 32, s24                                     // 000000002E90: 921F18A0
	v_add_u32_e32 v50, s31, v50                                // 000000002E94: 6864641F
	s_mul_i32 s32, s22, 64                                     // 000000002E98: 9220C016
	s_mul_i32 s32, s32, 2                                      // 000000002E9C: 92208220
	v_add_u32_e32 v50, s32, v50                                // 000000002EA0: 68646420
	v_mov_b32_e32 v52, 0                                       // 000000002EA4: 7E680280
	v_mov_b32_e32 v53, 0                                       // 000000002EA8: 7E6A0280
	buffer_load_dwordx2 v[52:53], v50, s[36:39], 0 offen       // 000000002EAC: E0541000 80093432
	s_waitcnt vmcnt(0)                                         // 000000002EB4: BF8C0F70
	v_mov_b32_e32 v4, 0xffff0000                               // 000000002EB8: 7E0802FF FFFF0000
	v_and_b32_e32 v4, v52, v4                                  // 000000002EC0: 26080934
	v_mov_b32_e32 v5, 0xffff                                   // 000000002EC4: 7E0A02FF 0000FFFF
	v_and_b32_e32 v5, v52, v5                                  // 000000002ECC: 260A0B34
	v_mov_b32_e32 v55, v4                                      // 000000002ED0: 7E6E0304
	v_lshlrev_b32_e32 v54, 16, v5                              // 000000002ED4: 246C0A90
	v_mov_b32_e32 v4, 0xffff0000                               // 000000002ED8: 7E0802FF FFFF0000
	v_and_b32_e32 v4, v53, v4                                  // 000000002EE0: 26080935
	v_mov_b32_e32 v5, 0xffff                                   // 000000002EE4: 7E0A02FF 0000FFFF
	v_and_b32_e32 v5, v53, v5                                  // 000000002EEC: 260A0B35
	v_mov_b32_e32 v57, v4                                      // 000000002EF0: 7E720304
	v_lshlrev_b32_e32 v56, 16, v5                              // 000000002EF4: 24700A90
	v_mov_b32_e32 v32, v54                                     // 000000002EF8: 7E400336
	v_mov_b32_e32 v33, v55                                     // 000000002EFC: 7E420337
	v_mov_b32_e32 v34, v56                                     // 000000002F00: 7E440338
	v_mov_b32_e32 v35, v57                                     // 000000002F04: 7E460339
	v_mov_b32_e32 v36, v54                                     // 000000002F08: 7E480336
	v_mov_b32_e32 v37, v55                                     // 000000002F0C: 7E4A0337
	v_mov_b32_e32 v38, v56                                     // 000000002F10: 7E4C0338
	v_mov_b32_e32 v39, v57                                     // 000000002F14: 7E4E0339
	v_mov_b32_e32 v40, v54                                     // 000000002F18: 7E500336
	v_mov_b32_e32 v41, v55                                     // 000000002F1C: 7E520337
	v_mov_b32_e32 v42, v56                                     // 000000002F20: 7E540338
	v_mov_b32_e32 v43, v57                                     // 000000002F24: 7E560339
	s_branch label_0197                                        // 000000002F28: BF82000C

0000000000002f2c <label_018B>:
	v_mov_b32_e32 v32, 0                                       // 000000002F2C: 7E400280
	v_mov_b32_e32 v33, 0                                       // 000000002F30: 7E420280
	v_mov_b32_e32 v34, 0                                       // 000000002F34: 7E440280
	v_mov_b32_e32 v35, 0                                       // 000000002F38: 7E460280
	v_mov_b32_e32 v36, 0                                       // 000000002F3C: 7E480280
	v_mov_b32_e32 v37, 0                                       // 000000002F40: 7E4A0280
	v_mov_b32_e32 v38, 0                                       // 000000002F44: 7E4C0280
	v_mov_b32_e32 v39, 0                                       // 000000002F48: 7E4E0280
	v_mov_b32_e32 v40, 0                                       // 000000002F4C: 7E500280
	v_mov_b32_e32 v41, 0                                       // 000000002F50: 7E520280
	v_mov_b32_e32 v42, 0                                       // 000000002F54: 7E540280
	v_mov_b32_e32 v43, 0                                       // 000000002F58: 7E560280

0000000000002f5c <label_0197>:
	s_add_u32 m0, 0, s42                                       // 000000002F5C: 807C2A80
	buffer_load_dword v16, s[4:7], 0 offen lds                 // 000000002F60: E0511000 80010010
	s_add_u32 m0, 0x100, s42                                   // 000000002F68: 807C2AFF 00000100
	buffer_load_dword v17, s[4:7], 0 offen lds                 // 000000002F70: E0511000 80010011
	s_add_u32 m0, 0x200, s42                                   // 000000002F78: 807C2AFF 00000200
	buffer_load_dword v18, s[4:7], 0 offen lds                 // 000000002F80: E0511000 80010012
	s_add_u32 m0, 0x300, s42                                   // 000000002F88: 807C2AFF 00000300
	buffer_load_dword v19, s[4:7], 0 offen lds                 // 000000002F90: E0511000 80010013
	s_add_u32 m0, 0x400, s42                                   // 000000002F98: 807C2AFF 00000400
	buffer_load_dword v20, s[4:7], 0 offen lds                 // 000000002FA0: E0511000 80010014
	s_add_u32 m0, 0x500, s42                                   // 000000002FA8: 807C2AFF 00000500
	buffer_load_dword v21, s[4:7], 0 offen lds                 // 000000002FB0: E0511000 80010015
	s_add_u32 s4, s40, s4                                      // 000000002FB8: 80040428
	s_addc_u32 s5, 0, s5                                       // 000000002FBC: 82050580
	s_sub_u32 s6, s6, s40                                      // 000000002FC0: 80862806
	s_add_u32 m0, 0, s45                                       // 000000002FC4: 807C2D80
	buffer_load_dword v23, s[8:11], 0 offen lds                // 000000002FC8: E0511000 80020017
	s_add_u32 m0, 0x100, s45                                   // 000000002FD0: 807C2DFF 00000100
	buffer_load_dword v24, s[8:11], 0 offen lds                // 000000002FD8: E0511000 80020018
	s_add_u32 m0, 0x200, s45                                   // 000000002FE0: 807C2DFF 00000200
	buffer_load_dword v25, s[8:11], 0 offen lds                // 000000002FE8: E0511000 80020019
	s_add_u32 m0, 0x300, s45                                   // 000000002FF0: 807C2DFF 00000300
	buffer_load_dword v26, s[8:11], 0 offen lds                // 000000002FF8: E0511000 8002001A
	s_add_u32 m0, 0x400, s45                                   // 000000003000: 807C2DFF 00000400
	buffer_load_dword v27, s[8:11], 0 offen lds                // 000000003008: E0511000 8002001B
	s_add_u32 m0, 0x500, s45                                   // 000000003010: 807C2DFF 00000500
	buffer_load_dword v28, s[8:11], 0 offen lds                // 000000003018: E0511000 8002001C
	s_add_u32 m0, 0x600, s45                                   // 000000003020: 807C2DFF 00000600
	buffer_load_dword v29, s[8:11], 0 offen lds                // 000000003028: E0511000 8002001D
	s_add_u32 m0, 0x700, s45                                   // 000000003030: 807C2DFF 00000700
	buffer_load_dword v30, s[8:11], 0 offen lds                // 000000003038: E0511000 8002001E
	s_add_u32 s8, s41, s8                                      // 000000003040: 80080829
	s_addc_u32 s9, 0, s9                                       // 000000003044: 82090980
	s_sub_u32 s10, s10, s41                                    // 000000003048: 808A290A
	s_add_u32 m0, 0, s43                                       // 00000000304C: 807C2B80
	buffer_load_dword v16, s[4:7], 0 offen lds                 // 000000003050: E0511000 80010010
	s_add_u32 m0, 0x100, s43                                   // 000000003058: 807C2BFF 00000100
	buffer_load_dword v17, s[4:7], 0 offen lds                 // 000000003060: E0511000 80010011
	s_add_u32 m0, 0x200, s43                                   // 000000003068: 807C2BFF 00000200
	;; [unrolled: 2-line block ×5, first 2 shown]
	buffer_load_dword v21, s[4:7], 0 offen lds                 // 0000000030A0: E0511000 80010015
	s_add_u32 s4, s40, s4                                      // 0000000030A8: 80040428
	s_addc_u32 s5, 0, s5                                       // 0000000030AC: 82050580
	s_sub_u32 s6, s6, s40                                      // 0000000030B0: 80862806
	s_add_u32 m0, 0, s46                                       // 0000000030B4: 807C2E80
	buffer_load_dword v23, s[8:11], 0 offen lds                // 0000000030B8: E0511000 80020017
	s_add_u32 m0, 0x100, s46                                   // 0000000030C0: 807C2EFF 00000100
	buffer_load_dword v24, s[8:11], 0 offen lds                // 0000000030C8: E0511000 80020018
	s_add_u32 m0, 0x200, s46                                   // 0000000030D0: 807C2EFF 00000200
	buffer_load_dword v25, s[8:11], 0 offen lds                // 0000000030D8: E0511000 80020019
	s_add_u32 m0, 0x300, s46                                   // 0000000030E0: 807C2EFF 00000300
	buffer_load_dword v26, s[8:11], 0 offen lds                // 0000000030E8: E0511000 8002001A
	s_add_u32 m0, 0x400, s46                                   // 0000000030F0: 807C2EFF 00000400
	buffer_load_dword v27, s[8:11], 0 offen lds                // 0000000030F8: E0511000 8002001B
	s_add_u32 m0, 0x500, s46                                   // 000000003100: 807C2EFF 00000500
	buffer_load_dword v28, s[8:11], 0 offen lds                // 000000003108: E0511000 8002001C
	s_add_u32 m0, 0x600, s46                                   // 000000003110: 807C2EFF 00000600
	buffer_load_dword v29, s[8:11], 0 offen lds                // 000000003118: E0511000 8002001D
	s_add_u32 m0, 0x700, s46                                   // 000000003120: 807C2EFF 00000700
	buffer_load_dword v30, s[8:11], 0 offen lds                // 000000003128: E0511000 8002001E
	s_add_u32 s8, s41, s8                                      // 000000003130: 80080829
	s_addc_u32 s9, 0, s9                                       // 000000003134: 82090980
	s_sub_u32 s10, s10, s41                                    // 000000003138: 808A290A
	s_add_u32 m0, 0, s44                                       // 00000000313C: 807C2C80
	buffer_load_dword v16, s[4:7], 0 offen lds                 // 000000003140: E0511000 80010010
	s_add_u32 m0, 0x100, s44                                   // 000000003148: 807C2CFF 00000100
	buffer_load_dword v17, s[4:7], 0 offen lds                 // 000000003150: E0511000 80010011
	s_add_u32 m0, 0x200, s44                                   // 000000003158: 807C2CFF 00000200
	;; [unrolled: 2-line block ×5, first 2 shown]
	buffer_load_dword v21, s[4:7], 0 offen lds                 // 000000003190: E0511000 80010015
	s_add_u32 s4, s40, s4                                      // 000000003198: 80040428
	s_addc_u32 s5, 0, s5                                       // 00000000319C: 82050580
	s_sub_u32 s6, s6, s40                                      // 0000000031A0: 80862806
	s_add_u32 m0, 0, s47                                       // 0000000031A4: 807C2F80
	buffer_load_dword v23, s[8:11], 0 offen lds                // 0000000031A8: E0511000 80020017
	s_add_u32 m0, 0x100, s47                                   // 0000000031B0: 807C2FFF 00000100
	buffer_load_dword v24, s[8:11], 0 offen lds                // 0000000031B8: E0511000 80020018
	s_add_u32 m0, 0x200, s47                                   // 0000000031C0: 807C2FFF 00000200
	buffer_load_dword v25, s[8:11], 0 offen lds                // 0000000031C8: E0511000 80020019
	s_add_u32 m0, 0x300, s47                                   // 0000000031D0: 807C2FFF 00000300
	buffer_load_dword v26, s[8:11], 0 offen lds                // 0000000031D8: E0511000 8002001A
	s_add_u32 m0, 0x400, s47                                   // 0000000031E0: 807C2FFF 00000400
	buffer_load_dword v27, s[8:11], 0 offen lds                // 0000000031E8: E0511000 8002001B
	s_add_u32 m0, 0x500, s47                                   // 0000000031F0: 807C2FFF 00000500
	buffer_load_dword v28, s[8:11], 0 offen lds                // 0000000031F8: E0511000 8002001C
	s_add_u32 m0, 0x600, s47                                   // 000000003200: 807C2FFF 00000600
	buffer_load_dword v29, s[8:11], 0 offen lds                // 000000003208: E0511000 8002001D
	s_add_u32 m0, 0x700, s47                                   // 000000003210: 807C2FFF 00000700
	buffer_load_dword v30, s[8:11], 0 offen lds                // 000000003218: E0511000 8002001E
	s_add_u32 s8, s41, s8                                      // 000000003220: 80080829
	s_addc_u32 s9, 0, s9                                       // 000000003224: 82090980
	s_sub_u32 s10, s10, s41                                    // 000000003228: 808A290A
	s_mov_b32 s34, s27                                         // 00000000322C: BEA2001B
	s_mov_b32 s33, 0                                           // 000000003230: BEA10080
	s_mul_i32 s31, s23, 48                                     // 000000003234: 921FB017
	s_sub_i32 s51, s25, s31                                    // 000000003238: 81B31F19
	s_waitcnt vmcnt(28)                                        // 00000000323C: BF8C4F7C
	s_barrier                                                  // 000000003240: BF8A0000
	ds_read_b128 a[0:3], v22                                   // 000000003244: DBFE0000 00000016
	ds_read_b128 a[4:7], v22 offset:64                         // 00000000324C: DBFE0040 04000016
	ds_read_b128 a[8:11], v22 offset:512                       // 000000003254: DBFE0200 08000016
	ds_read_b128 a[12:15], v22 offset:576                      // 00000000325C: DBFE0240 0C000016
	ds_read_b128 a[16:19], v22 offset:1024                     // 000000003264: DBFE0400 10000016
	ds_read_b128 a[20:23], v22 offset:1088                     // 00000000326C: DBFE0440 14000016
	ds_read_b128 a[48:51], v31 offset:18816                    // 000000003274: DBFE4980 3000001F
	ds_read_b128 a[52:55], v31 offset:18880                    // 00000000327C: DBFE49C0 3400001F
	s_cmp_lt_i32 s24, 2                                        // 000000003284: BF048218
	s_cbranch_scc0 label_04FE                                  // 000000003288: BF84029B

000000000000328c <label_0263>:
	s_waitcnt vmcnt(14) lgkmcnt(0)                             // 00000000328C: BF8C007E
	s_barrier                                                  // 000000003290: BF8A0000
	v_mfma_f32_16x16x16_bf16 v[32:35], a[48:49], a[0:1], v[32:35]// 000000003294: D3E10020 1C820130
	s_add_u32 m0, 0, s42                                       // 00000000329C: 807C2A80
	buffer_load_dword v16, s[4:7], 0 offen lds                 // 0000000032A0: E0511000 80010010
	v_mfma_f32_16x16x16_bf16 v[32:35], a[50:51], a[2:3], v[32:35]// 0000000032A8: D3E10020 1C820532
	s_add_u32 m0, 0x100, s42                                   // 0000000032B0: 807C2AFF 00000100
	buffer_load_dword v17, s[4:7], 0 offen lds                 // 0000000032B8: E0511000 80010011
	ds_read_b128 a[24:27], v22 offset:6272                     // 0000000032C0: DBFE1880 18000016
	ds_read_b128 a[28:31], v22 offset:6336                     // 0000000032C8: DBFE18C0 1C000016
	v_mfma_f32_16x16x16_bf16 v[32:35], a[52:53], a[4:5], v[32:35]// 0000000032D0: D3E10020 1C820934
	s_add_u32 m0, 0x200, s42                                   // 0000000032D8: 807C2AFF 00000200
	buffer_load_dword v18, s[4:7], 0 offen lds                 // 0000000032E0: E0511000 80010012
	v_mfma_f32_16x16x16_bf16 v[32:35], a[54:55], a[6:7], v[32:35]// 0000000032E8: D3E10020 1C820D36
	s_add_u32 m0, 0x300, s42                                   // 0000000032F0: 807C2AFF 00000300
	buffer_load_dword v19, s[4:7], 0 offen lds                 // 0000000032F8: E0511000 80010013
	ds_read_b128 a[32:35], v22 offset:6784                     // 000000003300: DBFE1A80 20000016
	ds_read_b128 a[36:39], v22 offset:6848                     // 000000003308: DBFE1AC0 24000016
	v_mfma_f32_16x16x16_bf16 v[36:39], a[48:49], a[8:9], v[36:39]// 000000003310: D3E10024 1C921130
	s_add_u32 m0, 0x400, s42                                   // 000000003318: 807C2AFF 00000400
	buffer_load_dword v20, s[4:7], 0 offen lds                 // 000000003320: E0511000 80010014
	v_mfma_f32_16x16x16_bf16 v[36:39], a[50:51], a[10:11], v[36:39]// 000000003328: D3E10024 1C921532
	s_add_u32 m0, 0x500, s42                                   // 000000003330: 807C2AFF 00000500
	buffer_load_dword v21, s[4:7], 0 offen lds                 // 000000003338: E0511000 80010015
	ds_read_b128 a[40:43], v22 offset:7296                     // 000000003340: DBFE1C80 28000016
	ds_read_b128 a[44:47], v22 offset:7360                     // 000000003348: DBFE1CC0 2C000016
	v_mfma_f32_16x16x16_bf16 v[36:39], a[52:53], a[12:13], v[36:39]// 000000003350: D3E10024 1C921934
	s_add_u32 s31, 0x100, s33                                  // 000000003358: 801F21FF 00000100
	s_cmp_lt_u32 s31, s34                                      // 000000003360: BF0A221F
	s_cselect_b32 s40, s40, 0                                  // 000000003364: 85288028
	s_add_u32 m0, 0, s45                                       // 000000003368: 807C2D80
	buffer_load_dword v23, s[8:11], 0 offen lds                // 00000000336C: E0511000 80020017
	v_mfma_f32_16x16x16_bf16 v[36:39], a[54:55], a[14:15], v[36:39]// 000000003374: D3E10024 1C921D36
	s_add_u32 m0, 0x100, s45                                   // 00000000337C: 807C2DFF 00000100
	buffer_load_dword v24, s[8:11], 0 offen lds                // 000000003384: E0511000 80020018
	s_add_u32 s4, s40, s4                                      // 00000000338C: 80040428
	s_addc_u32 s5, 0, s5                                       // 000000003390: 82050580
	ds_read_b128 a[56:59], v31 offset:27136                    // 000000003394: DBFE6A00 3800001F
	ds_read_b128 a[60:63], v31 offset:27200                    // 00000000339C: DBFE6A40 3C00001F
	v_mfma_f32_16x16x16_bf16 v[40:43], a[48:49], a[16:17], v[40:43]// 0000000033A4: D3E10028 1CA22130
	s_add_u32 m0, 0x200, s45                                   // 0000000033AC: 807C2DFF 00000200
	buffer_load_dword v25, s[8:11], 0 offen lds                // 0000000033B4: E0511000 80020019
	v_mfma_f32_16x16x16_bf16 v[40:43], a[50:51], a[18:19], v[40:43]// 0000000033BC: D3E10028 1CA22532
	s_add_u32 m0, 0x300, s45                                   // 0000000033C4: 807C2DFF 00000300
	buffer_load_dword v26, s[8:11], 0 offen lds                // 0000000033CC: E0511000 8002001A
	v_mfma_f32_16x16x16_bf16 v[40:43], a[52:53], a[20:21], v[40:43]// 0000000033D4: D3E10028 1CA22934
	s_add_u32 m0, 0x400, s45                                   // 0000000033DC: 807C2DFF 00000400
	buffer_load_dword v27, s[8:11], 0 offen lds                // 0000000033E4: E0511000 8002001B
	v_mfma_f32_16x16x16_bf16 v[40:43], a[54:55], a[22:23], v[40:43]// 0000000033EC: D3E10028 1CA22D36
	s_add_u32 m0, 0x500, s45                                   // 0000000033F4: 807C2DFF 00000500
	buffer_load_dword v28, s[8:11], 0 offen lds                // 0000000033FC: E0511000 8002001C
	s_add_u32 m0, 0x600, s45                                   // 000000003404: 807C2DFF 00000600
	buffer_load_dword v29, s[8:11], 0 offen lds                // 00000000340C: E0511000 8002001D
	s_add_u32 m0, 0x700, s45                                   // 000000003414: 807C2DFF 00000700
	buffer_load_dword v30, s[8:11], 0 offen lds                // 00000000341C: E0511000 8002001E
	s_add_u32 s31, 0x100, s33                                  // 000000003424: 801F21FF 00000100
	s_cmp_lt_u32 s31, s34                                      // 00000000342C: BF0A221F
	s_cselect_b32 s41, s41, 0                                  // 000000003430: 85298029
	s_add_u32 s8, s41, s8                                      // 000000003434: 80080829
	s_addc_u32 s9, 0, s9                                       // 000000003438: 82090980
	s_addk_i32 s33, 0x40                                       // 00000000343C: B7210040
	s_cmp_lt_i32 s33, s34                                      // 000000003440: BF042221
	s_cbranch_scc0 label_0799                                  // 000000003444: BF8404C7
	s_waitcnt vmcnt(14) lgkmcnt(0)                             // 000000003448: BF8C007E
	s_barrier                                                  // 00000000344C: BF8A0000
	v_mfma_f32_16x16x16_bf16 v[32:35], a[56:57], a[24:25], v[32:35]// 000000003450: D3E10020 1C823138
	s_add_u32 m0, 0, s43                                       // 000000003458: 807C2B80
	buffer_load_dword v16, s[4:7], 0 offen lds                 // 00000000345C: E0511000 80010010
	v_mfma_f32_16x16x16_bf16 v[32:35], a[58:59], a[26:27], v[32:35]// 000000003464: D3E10020 1C82353A
	s_add_u32 m0, 0x100, s43                                   // 00000000346C: 807C2BFF 00000100
	buffer_load_dword v17, s[4:7], 0 offen lds                 // 000000003474: E0511000 80010011
	ds_read_b128 a[0:3], v22 offset:12544                      // 00000000347C: DBFE3100 00000016
	ds_read_b128 a[4:7], v22 offset:12608                      // 000000003484: DBFE3140 04000016
	v_mfma_f32_16x16x16_bf16 v[32:35], a[60:61], a[28:29], v[32:35]// 00000000348C: D3E10020 1C82393C
	s_add_u32 m0, 0x200, s43                                   // 000000003494: 807C2BFF 00000200
	buffer_load_dword v18, s[4:7], 0 offen lds                 // 00000000349C: E0511000 80010012
	v_mfma_f32_16x16x16_bf16 v[32:35], a[62:63], a[30:31], v[32:35]// 0000000034A4: D3E10020 1C823D3E
	s_add_u32 m0, 0x300, s43                                   // 0000000034AC: 807C2BFF 00000300
	buffer_load_dword v19, s[4:7], 0 offen lds                 // 0000000034B4: E0511000 80010013
	ds_read_b128 a[8:11], v22 offset:13056                     // 0000000034BC: DBFE3300 08000016
	ds_read_b128 a[12:15], v22 offset:13120                    // 0000000034C4: DBFE3340 0C000016
	v_mfma_f32_16x16x16_bf16 v[36:39], a[56:57], a[32:33], v[36:39]// 0000000034CC: D3E10024 1C924138
	s_add_u32 m0, 0x400, s43                                   // 0000000034D4: 807C2BFF 00000400
	buffer_load_dword v20, s[4:7], 0 offen lds                 // 0000000034DC: E0511000 80010014
	v_mfma_f32_16x16x16_bf16 v[36:39], a[58:59], a[34:35], v[36:39]// 0000000034E4: D3E10024 1C92453A
	s_add_u32 m0, 0x500, s43                                   // 0000000034EC: 807C2BFF 00000500
	buffer_load_dword v21, s[4:7], 0 offen lds                 // 0000000034F4: E0511000 80010015
	ds_read_b128 a[16:19], v22 offset:13568                    // 0000000034FC: DBFE3500 10000016
	ds_read_b128 a[20:23], v22 offset:13632                    // 000000003504: DBFE3540 14000016
	v_mfma_f32_16x16x16_bf16 v[36:39], a[60:61], a[36:37], v[36:39]// 00000000350C: D3E10024 1C92493C
	s_add_u32 s31, 0x100, s33                                  // 000000003514: 801F21FF 00000100
	s_cmp_lt_u32 s31, s34                                      // 00000000351C: BF0A221F
	s_cselect_b32 s40, s40, 0                                  // 000000003520: 85288028
	s_add_u32 m0, 0, s46                                       // 000000003524: 807C2E80
	buffer_load_dword v23, s[8:11], 0 offen lds                // 000000003528: E0511000 80020017
	v_mfma_f32_16x16x16_bf16 v[36:39], a[62:63], a[38:39], v[36:39]// 000000003530: D3E10024 1C924D3E
	s_add_u32 m0, 0x100, s46                                   // 000000003538: 807C2EFF 00000100
	buffer_load_dword v24, s[8:11], 0 offen lds                // 000000003540: E0511000 80020018
	s_add_u32 s4, s40, s4                                      // 000000003548: 80040428
	s_addc_u32 s5, 0, s5                                       // 00000000354C: 82050580
	ds_read_b128 a[48:51], v31 offset:35456                    // 000000003550: DBFE8A80 3000001F
	ds_read_b128 a[52:55], v31 offset:35520                    // 000000003558: DBFE8AC0 3400001F
	v_mfma_f32_16x16x16_bf16 v[40:43], a[56:57], a[40:41], v[40:43]// 000000003560: D3E10028 1CA25138
	s_add_u32 m0, 0x200, s46                                   // 000000003568: 807C2EFF 00000200
	buffer_load_dword v25, s[8:11], 0 offen lds                // 000000003570: E0511000 80020019
	v_mfma_f32_16x16x16_bf16 v[40:43], a[58:59], a[42:43], v[40:43]// 000000003578: D3E10028 1CA2553A
	s_add_u32 m0, 0x300, s46                                   // 000000003580: 807C2EFF 00000300
	buffer_load_dword v26, s[8:11], 0 offen lds                // 000000003588: E0511000 8002001A
	v_mfma_f32_16x16x16_bf16 v[40:43], a[60:61], a[44:45], v[40:43]// 000000003590: D3E10028 1CA2593C
	s_add_u32 m0, 0x400, s46                                   // 000000003598: 807C2EFF 00000400
	buffer_load_dword v27, s[8:11], 0 offen lds                // 0000000035A0: E0511000 8002001B
	v_mfma_f32_16x16x16_bf16 v[40:43], a[62:63], a[46:47], v[40:43]// 0000000035A8: D3E10028 1CA25D3E
	s_add_u32 m0, 0x500, s46                                   // 0000000035B0: 807C2EFF 00000500
	buffer_load_dword v28, s[8:11], 0 offen lds                // 0000000035B8: E0511000 8002001C
	s_add_u32 m0, 0x600, s46                                   // 0000000035C0: 807C2EFF 00000600
	buffer_load_dword v29, s[8:11], 0 offen lds                // 0000000035C8: E0511000 8002001D
	s_add_u32 m0, 0x700, s46                                   // 0000000035D0: 807C2EFF 00000700
	buffer_load_dword v30, s[8:11], 0 offen lds                // 0000000035D8: E0511000 8002001E
	s_add_u32 s31, 0x100, s33                                  // 0000000035E0: 801F21FF 00000100
	s_cmp_lt_u32 s31, s34                                      // 0000000035E8: BF0A221F
	s_cselect_b32 s41, s41, 0                                  // 0000000035EC: 85298029
	s_add_u32 s8, s41, s8                                      // 0000000035F0: 80080829
	s_addc_u32 s9, 0, s9                                       // 0000000035F4: 82090980
	s_addk_i32 s33, 0x40                                       // 0000000035F8: B7210040
	s_cmp_lt_i32 s33, s34                                      // 0000000035FC: BF042221
	s_cbranch_scc0 label_0799                                  // 000000003600: BF840458
	s_waitcnt vmcnt(14) lgkmcnt(0)                             // 000000003604: BF8C007E
	s_barrier                                                  // 000000003608: BF8A0000
	v_mfma_f32_16x16x16_bf16 v[32:35], a[48:49], a[0:1], v[32:35]// 00000000360C: D3E10020 1C820130
	s_add_u32 m0, 0, s44                                       // 000000003614: 807C2C80
	buffer_load_dword v16, s[4:7], 0 offen lds                 // 000000003618: E0511000 80010010
	v_mfma_f32_16x16x16_bf16 v[32:35], a[50:51], a[2:3], v[32:35]// 000000003620: D3E10020 1C820532
	s_add_u32 m0, 0x100, s44                                   // 000000003628: 807C2CFF 00000100
	buffer_load_dword v17, s[4:7], 0 offen lds                 // 000000003630: E0511000 80010011
	ds_read_b128 a[24:27], v22                                 // 000000003638: DBFE0000 18000016
	ds_read_b128 a[28:31], v22 offset:64                       // 000000003640: DBFE0040 1C000016
	v_mfma_f32_16x16x16_bf16 v[32:35], a[52:53], a[4:5], v[32:35]// 000000003648: D3E10020 1C820934
	s_add_u32 m0, 0x200, s44                                   // 000000003650: 807C2CFF 00000200
	buffer_load_dword v18, s[4:7], 0 offen lds                 // 000000003658: E0511000 80010012
	v_mfma_f32_16x16x16_bf16 v[32:35], a[54:55], a[6:7], v[32:35]// 000000003660: D3E10020 1C820D36
	s_add_u32 m0, 0x300, s44                                   // 000000003668: 807C2CFF 00000300
	buffer_load_dword v19, s[4:7], 0 offen lds                 // 000000003670: E0511000 80010013
	ds_read_b128 a[32:35], v22 offset:512                      // 000000003678: DBFE0200 20000016
	ds_read_b128 a[36:39], v22 offset:576                      // 000000003680: DBFE0240 24000016
	v_mfma_f32_16x16x16_bf16 v[36:39], a[48:49], a[8:9], v[36:39]// 000000003688: D3E10024 1C921130
	s_add_u32 m0, 0x400, s44                                   // 000000003690: 807C2CFF 00000400
	buffer_load_dword v20, s[4:7], 0 offen lds                 // 000000003698: E0511000 80010014
	v_mfma_f32_16x16x16_bf16 v[36:39], a[50:51], a[10:11], v[36:39]// 0000000036A0: D3E10024 1C921532
	s_add_u32 m0, 0x500, s44                                   // 0000000036A8: 807C2CFF 00000500
	buffer_load_dword v21, s[4:7], 0 offen lds                 // 0000000036B0: E0511000 80010015
	ds_read_b128 a[40:43], v22 offset:1024                     // 0000000036B8: DBFE0400 28000016
	ds_read_b128 a[44:47], v22 offset:1088                     // 0000000036C0: DBFE0440 2C000016
	v_mfma_f32_16x16x16_bf16 v[36:39], a[52:53], a[12:13], v[36:39]// 0000000036C8: D3E10024 1C921934
	s_add_u32 s31, 0x100, s33                                  // 0000000036D0: 801F21FF 00000100
	s_cmp_lt_u32 s31, s34                                      // 0000000036D8: BF0A221F
	s_cselect_b32 s40, s40, 0                                  // 0000000036DC: 85288028
	s_add_u32 m0, 0, s47                                       // 0000000036E0: 807C2F80
	buffer_load_dword v23, s[8:11], 0 offen lds                // 0000000036E4: E0511000 80020017
	v_mfma_f32_16x16x16_bf16 v[36:39], a[54:55], a[14:15], v[36:39]// 0000000036EC: D3E10024 1C921D36
	s_add_u32 m0, 0x100, s47                                   // 0000000036F4: 807C2FFF 00000100
	buffer_load_dword v24, s[8:11], 0 offen lds                // 0000000036FC: E0511000 80020018
	s_add_u32 s4, s40, s4                                      // 000000003704: 80040428
	s_addc_u32 s5, 0, s5                                       // 000000003708: 82050580
	ds_read_b128 a[56:59], v31 offset:18816                    // 00000000370C: DBFE4980 3800001F
	ds_read_b128 a[60:63], v31 offset:18880                    // 000000003714: DBFE49C0 3C00001F
	v_mfma_f32_16x16x16_bf16 v[40:43], a[48:49], a[16:17], v[40:43]// 00000000371C: D3E10028 1CA22130
	s_add_u32 m0, 0x200, s47                                   // 000000003724: 807C2FFF 00000200
	buffer_load_dword v25, s[8:11], 0 offen lds                // 00000000372C: E0511000 80020019
	v_mfma_f32_16x16x16_bf16 v[40:43], a[50:51], a[18:19], v[40:43]// 000000003734: D3E10028 1CA22532
	s_add_u32 m0, 0x300, s47                                   // 00000000373C: 807C2FFF 00000300
	buffer_load_dword v26, s[8:11], 0 offen lds                // 000000003744: E0511000 8002001A
	v_mfma_f32_16x16x16_bf16 v[40:43], a[52:53], a[20:21], v[40:43]// 00000000374C: D3E10028 1CA22934
	s_add_u32 m0, 0x400, s47                                   // 000000003754: 807C2FFF 00000400
	buffer_load_dword v27, s[8:11], 0 offen lds                // 00000000375C: E0511000 8002001B
	v_mfma_f32_16x16x16_bf16 v[40:43], a[54:55], a[22:23], v[40:43]// 000000003764: D3E10028 1CA22D36
	s_add_u32 m0, 0x500, s47                                   // 00000000376C: 807C2FFF 00000500
	buffer_load_dword v28, s[8:11], 0 offen lds                // 000000003774: E0511000 8002001C
	s_add_u32 m0, 0x600, s47                                   // 00000000377C: 807C2FFF 00000600
	buffer_load_dword v29, s[8:11], 0 offen lds                // 000000003784: E0511000 8002001D
	s_add_u32 m0, 0x700, s47                                   // 00000000378C: 807C2FFF 00000700
	buffer_load_dword v30, s[8:11], 0 offen lds                // 000000003794: E0511000 8002001E
	s_add_u32 s31, 0x100, s33                                  // 00000000379C: 801F21FF 00000100
	s_cmp_lt_u32 s31, s34                                      // 0000000037A4: BF0A221F
	s_cselect_b32 s41, s41, 0                                  // 0000000037A8: 85298029
	s_add_u32 s8, s41, s8                                      // 0000000037AC: 80080829
	s_addc_u32 s9, 0, s9                                       // 0000000037B0: 82090980
	s_addk_i32 s33, 0x40                                       // 0000000037B4: B7210040
	s_cmp_lt_i32 s33, s34                                      // 0000000037B8: BF042221
	s_cbranch_scc0 label_0799                                  // 0000000037BC: BF8403E9
	s_waitcnt vmcnt(14) lgkmcnt(0)                             // 0000000037C0: BF8C007E
	s_barrier                                                  // 0000000037C4: BF8A0000
	v_mfma_f32_16x16x16_bf16 v[32:35], a[56:57], a[24:25], v[32:35]// 0000000037C8: D3E10020 1C823138
	s_add_u32 m0, 0, s42                                       // 0000000037D0: 807C2A80
	buffer_load_dword v16, s[4:7], 0 offen lds                 // 0000000037D4: E0511000 80010010
	v_mfma_f32_16x16x16_bf16 v[32:35], a[58:59], a[26:27], v[32:35]// 0000000037DC: D3E10020 1C82353A
	s_add_u32 m0, 0x100, s42                                   // 0000000037E4: 807C2AFF 00000100
	buffer_load_dword v17, s[4:7], 0 offen lds                 // 0000000037EC: E0511000 80010011
	ds_read_b128 a[0:3], v22 offset:6272                       // 0000000037F4: DBFE1880 00000016
	ds_read_b128 a[4:7], v22 offset:6336                       // 0000000037FC: DBFE18C0 04000016
	v_mfma_f32_16x16x16_bf16 v[32:35], a[60:61], a[28:29], v[32:35]// 000000003804: D3E10020 1C82393C
	s_add_u32 m0, 0x200, s42                                   // 00000000380C: 807C2AFF 00000200
	buffer_load_dword v18, s[4:7], 0 offen lds                 // 000000003814: E0511000 80010012
	v_mfma_f32_16x16x16_bf16 v[32:35], a[62:63], a[30:31], v[32:35]// 00000000381C: D3E10020 1C823D3E
	s_add_u32 m0, 0x300, s42                                   // 000000003824: 807C2AFF 00000300
	buffer_load_dword v19, s[4:7], 0 offen lds                 // 00000000382C: E0511000 80010013
	ds_read_b128 a[8:11], v22 offset:6784                      // 000000003834: DBFE1A80 08000016
	ds_read_b128 a[12:15], v22 offset:6848                     // 00000000383C: DBFE1AC0 0C000016
	v_mfma_f32_16x16x16_bf16 v[36:39], a[56:57], a[32:33], v[36:39]// 000000003844: D3E10024 1C924138
	s_add_u32 m0, 0x400, s42                                   // 00000000384C: 807C2AFF 00000400
	buffer_load_dword v20, s[4:7], 0 offen lds                 // 000000003854: E0511000 80010014
	v_mfma_f32_16x16x16_bf16 v[36:39], a[58:59], a[34:35], v[36:39]// 00000000385C: D3E10024 1C92453A
	s_add_u32 m0, 0x500, s42                                   // 000000003864: 807C2AFF 00000500
	buffer_load_dword v21, s[4:7], 0 offen lds                 // 00000000386C: E0511000 80010015
	ds_read_b128 a[16:19], v22 offset:7296                     // 000000003874: DBFE1C80 10000016
	ds_read_b128 a[20:23], v22 offset:7360                     // 00000000387C: DBFE1CC0 14000016
	v_mfma_f32_16x16x16_bf16 v[36:39], a[60:61], a[36:37], v[36:39]// 000000003884: D3E10024 1C92493C
	s_add_u32 s31, 0x100, s33                                  // 00000000388C: 801F21FF 00000100
	s_cmp_lt_u32 s31, s34                                      // 000000003894: BF0A221F
	s_cselect_b32 s40, s40, 0                                  // 000000003898: 85288028
	s_add_u32 m0, 0, s45                                       // 00000000389C: 807C2D80
	buffer_load_dword v23, s[8:11], 0 offen lds                // 0000000038A0: E0511000 80020017
	v_mfma_f32_16x16x16_bf16 v[36:39], a[62:63], a[38:39], v[36:39]// 0000000038A8: D3E10024 1C924D3E
	s_add_u32 m0, 0x100, s45                                   // 0000000038B0: 807C2DFF 00000100
	buffer_load_dword v24, s[8:11], 0 offen lds                // 0000000038B8: E0511000 80020018
	s_add_u32 s4, s40, s4                                      // 0000000038C0: 80040428
	s_addc_u32 s5, 0, s5                                       // 0000000038C4: 82050580
	ds_read_b128 a[48:51], v31 offset:27136                    // 0000000038C8: DBFE6A00 3000001F
	ds_read_b128 a[52:55], v31 offset:27200                    // 0000000038D0: DBFE6A40 3400001F
	v_mfma_f32_16x16x16_bf16 v[40:43], a[56:57], a[40:41], v[40:43]// 0000000038D8: D3E10028 1CA25138
	s_add_u32 m0, 0x200, s45                                   // 0000000038E0: 807C2DFF 00000200
	buffer_load_dword v25, s[8:11], 0 offen lds                // 0000000038E8: E0511000 80020019
	v_mfma_f32_16x16x16_bf16 v[40:43], a[58:59], a[42:43], v[40:43]// 0000000038F0: D3E10028 1CA2553A
	s_add_u32 m0, 0x300, s45                                   // 0000000038F8: 807C2DFF 00000300
	buffer_load_dword v26, s[8:11], 0 offen lds                // 000000003900: E0511000 8002001A
	v_mfma_f32_16x16x16_bf16 v[40:43], a[60:61], a[44:45], v[40:43]// 000000003908: D3E10028 1CA2593C
	s_add_u32 m0, 0x400, s45                                   // 000000003910: 807C2DFF 00000400
	buffer_load_dword v27, s[8:11], 0 offen lds                // 000000003918: E0511000 8002001B
	v_mfma_f32_16x16x16_bf16 v[40:43], a[62:63], a[46:47], v[40:43]// 000000003920: D3E10028 1CA25D3E
	s_add_u32 m0, 0x500, s45                                   // 000000003928: 807C2DFF 00000500
	buffer_load_dword v28, s[8:11], 0 offen lds                // 000000003930: E0511000 8002001C
	s_add_u32 m0, 0x600, s45                                   // 000000003938: 807C2DFF 00000600
	buffer_load_dword v29, s[8:11], 0 offen lds                // 000000003940: E0511000 8002001D
	s_add_u32 m0, 0x700, s45                                   // 000000003948: 807C2DFF 00000700
	buffer_load_dword v30, s[8:11], 0 offen lds                // 000000003950: E0511000 8002001E
	s_add_u32 s31, 0x100, s33                                  // 000000003958: 801F21FF 00000100
	s_cmp_lt_u32 s31, s34                                      // 000000003960: BF0A221F
	s_cselect_b32 s41, s41, 0                                  // 000000003964: 85298029
	s_add_u32 s8, s41, s8                                      // 000000003968: 80080829
	s_addc_u32 s9, 0, s9                                       // 00000000396C: 82090980
	s_addk_i32 s33, 0x40                                       // 000000003970: B7210040
	s_cmp_lt_i32 s33, s34                                      // 000000003974: BF042221
	s_cbranch_scc0 label_0799                                  // 000000003978: BF84037A
	s_waitcnt vmcnt(14) lgkmcnt(0)                             // 00000000397C: BF8C007E
	s_barrier                                                  // 000000003980: BF8A0000
	v_mfma_f32_16x16x16_bf16 v[32:35], a[48:49], a[0:1], v[32:35]// 000000003984: D3E10020 1C820130
	s_add_u32 m0, 0, s43                                       // 00000000398C: 807C2B80
	buffer_load_dword v16, s[4:7], 0 offen lds                 // 000000003990: E0511000 80010010
	v_mfma_f32_16x16x16_bf16 v[32:35], a[50:51], a[2:3], v[32:35]// 000000003998: D3E10020 1C820532
	s_add_u32 m0, 0x100, s43                                   // 0000000039A0: 807C2BFF 00000100
	buffer_load_dword v17, s[4:7], 0 offen lds                 // 0000000039A8: E0511000 80010011
	ds_read_b128 a[24:27], v22 offset:12544                    // 0000000039B0: DBFE3100 18000016
	ds_read_b128 a[28:31], v22 offset:12608                    // 0000000039B8: DBFE3140 1C000016
	v_mfma_f32_16x16x16_bf16 v[32:35], a[52:53], a[4:5], v[32:35]// 0000000039C0: D3E10020 1C820934
	s_add_u32 m0, 0x200, s43                                   // 0000000039C8: 807C2BFF 00000200
	buffer_load_dword v18, s[4:7], 0 offen lds                 // 0000000039D0: E0511000 80010012
	v_mfma_f32_16x16x16_bf16 v[32:35], a[54:55], a[6:7], v[32:35]// 0000000039D8: D3E10020 1C820D36
	s_add_u32 m0, 0x300, s43                                   // 0000000039E0: 807C2BFF 00000300
	buffer_load_dword v19, s[4:7], 0 offen lds                 // 0000000039E8: E0511000 80010013
	ds_read_b128 a[32:35], v22 offset:13056                    // 0000000039F0: DBFE3300 20000016
	ds_read_b128 a[36:39], v22 offset:13120                    // 0000000039F8: DBFE3340 24000016
	v_mfma_f32_16x16x16_bf16 v[36:39], a[48:49], a[8:9], v[36:39]// 000000003A00: D3E10024 1C921130
	s_add_u32 m0, 0x400, s43                                   // 000000003A08: 807C2BFF 00000400
	buffer_load_dword v20, s[4:7], 0 offen lds                 // 000000003A10: E0511000 80010014
	v_mfma_f32_16x16x16_bf16 v[36:39], a[50:51], a[10:11], v[36:39]// 000000003A18: D3E10024 1C921532
	s_add_u32 m0, 0x500, s43                                   // 000000003A20: 807C2BFF 00000500
	buffer_load_dword v21, s[4:7], 0 offen lds                 // 000000003A28: E0511000 80010015
	ds_read_b128 a[40:43], v22 offset:13568                    // 000000003A30: DBFE3500 28000016
	ds_read_b128 a[44:47], v22 offset:13632                    // 000000003A38: DBFE3540 2C000016
	v_mfma_f32_16x16x16_bf16 v[36:39], a[52:53], a[12:13], v[36:39]// 000000003A40: D3E10024 1C921934
	s_add_u32 s31, 0x100, s33                                  // 000000003A48: 801F21FF 00000100
	s_cmp_lt_u32 s31, s34                                      // 000000003A50: BF0A221F
	s_cselect_b32 s40, s40, 0                                  // 000000003A54: 85288028
	s_add_u32 m0, 0, s46                                       // 000000003A58: 807C2E80
	buffer_load_dword v23, s[8:11], 0 offen lds                // 000000003A5C: E0511000 80020017
	v_mfma_f32_16x16x16_bf16 v[36:39], a[54:55], a[14:15], v[36:39]// 000000003A64: D3E10024 1C921D36
	s_add_u32 m0, 0x100, s46                                   // 000000003A6C: 807C2EFF 00000100
	buffer_load_dword v24, s[8:11], 0 offen lds                // 000000003A74: E0511000 80020018
	s_add_u32 s4, s40, s4                                      // 000000003A7C: 80040428
	s_addc_u32 s5, 0, s5                                       // 000000003A80: 82050580
	ds_read_b128 a[56:59], v31 offset:35456                    // 000000003A84: DBFE8A80 3800001F
	ds_read_b128 a[60:63], v31 offset:35520                    // 000000003A8C: DBFE8AC0 3C00001F
	v_mfma_f32_16x16x16_bf16 v[40:43], a[48:49], a[16:17], v[40:43]// 000000003A94: D3E10028 1CA22130
	s_add_u32 m0, 0x200, s46                                   // 000000003A9C: 807C2EFF 00000200
	buffer_load_dword v25, s[8:11], 0 offen lds                // 000000003AA4: E0511000 80020019
	v_mfma_f32_16x16x16_bf16 v[40:43], a[50:51], a[18:19], v[40:43]// 000000003AAC: D3E10028 1CA22532
	s_add_u32 m0, 0x300, s46                                   // 000000003AB4: 807C2EFF 00000300
	buffer_load_dword v26, s[8:11], 0 offen lds                // 000000003ABC: E0511000 8002001A
	v_mfma_f32_16x16x16_bf16 v[40:43], a[52:53], a[20:21], v[40:43]// 000000003AC4: D3E10028 1CA22934
	s_add_u32 m0, 0x400, s46                                   // 000000003ACC: 807C2EFF 00000400
	buffer_load_dword v27, s[8:11], 0 offen lds                // 000000003AD4: E0511000 8002001B
	v_mfma_f32_16x16x16_bf16 v[40:43], a[54:55], a[22:23], v[40:43]// 000000003ADC: D3E10028 1CA22D36
	s_add_u32 m0, 0x500, s46                                   // 000000003AE4: 807C2EFF 00000500
	buffer_load_dword v28, s[8:11], 0 offen lds                // 000000003AEC: E0511000 8002001C
	s_add_u32 m0, 0x600, s46                                   // 000000003AF4: 807C2EFF 00000600
	buffer_load_dword v29, s[8:11], 0 offen lds                // 000000003AFC: E0511000 8002001D
	s_add_u32 m0, 0x700, s46                                   // 000000003B04: 807C2EFF 00000700
	buffer_load_dword v30, s[8:11], 0 offen lds                // 000000003B0C: E0511000 8002001E
	s_add_u32 s31, 0x100, s33                                  // 000000003B14: 801F21FF 00000100
	s_cmp_lt_u32 s31, s34                                      // 000000003B1C: BF0A221F
	s_cselect_b32 s41, s41, 0                                  // 000000003B20: 85298029
	s_add_u32 s8, s41, s8                                      // 000000003B24: 80080829
	s_addc_u32 s9, 0, s9                                       // 000000003B28: 82090980
	s_addk_i32 s33, 0x40                                       // 000000003B2C: B7210040
	s_cmp_lt_i32 s33, s34                                      // 000000003B30: BF042221
	s_cbranch_scc0 label_0799                                  // 000000003B34: BF84030B
	s_waitcnt vmcnt(14) lgkmcnt(0)                             // 000000003B38: BF8C007E
	s_barrier                                                  // 000000003B3C: BF8A0000
	v_mfma_f32_16x16x16_bf16 v[32:35], a[56:57], a[24:25], v[32:35]// 000000003B40: D3E10020 1C823138
	s_add_u32 m0, 0, s44                                       // 000000003B48: 807C2C80
	buffer_load_dword v16, s[4:7], 0 offen lds                 // 000000003B4C: E0511000 80010010
	v_mfma_f32_16x16x16_bf16 v[32:35], a[58:59], a[26:27], v[32:35]// 000000003B54: D3E10020 1C82353A
	s_add_u32 m0, 0x100, s44                                   // 000000003B5C: 807C2CFF 00000100
	buffer_load_dword v17, s[4:7], 0 offen lds                 // 000000003B64: E0511000 80010011
	ds_read_b128 a[0:3], v22                                   // 000000003B6C: DBFE0000 00000016
	ds_read_b128 a[4:7], v22 offset:64                         // 000000003B74: DBFE0040 04000016
	v_mfma_f32_16x16x16_bf16 v[32:35], a[60:61], a[28:29], v[32:35]// 000000003B7C: D3E10020 1C82393C
	s_add_u32 m0, 0x200, s44                                   // 000000003B84: 807C2CFF 00000200
	buffer_load_dword v18, s[4:7], 0 offen lds                 // 000000003B8C: E0511000 80010012
	v_mfma_f32_16x16x16_bf16 v[32:35], a[62:63], a[30:31], v[32:35]// 000000003B94: D3E10020 1C823D3E
	s_add_u32 m0, 0x300, s44                                   // 000000003B9C: 807C2CFF 00000300
	buffer_load_dword v19, s[4:7], 0 offen lds                 // 000000003BA4: E0511000 80010013
	ds_read_b128 a[8:11], v22 offset:512                       // 000000003BAC: DBFE0200 08000016
	ds_read_b128 a[12:15], v22 offset:576                      // 000000003BB4: DBFE0240 0C000016
	v_mfma_f32_16x16x16_bf16 v[36:39], a[56:57], a[32:33], v[36:39]// 000000003BBC: D3E10024 1C924138
	s_add_u32 m0, 0x400, s44                                   // 000000003BC4: 807C2CFF 00000400
	buffer_load_dword v20, s[4:7], 0 offen lds                 // 000000003BCC: E0511000 80010014
	v_mfma_f32_16x16x16_bf16 v[36:39], a[58:59], a[34:35], v[36:39]// 000000003BD4: D3E10024 1C92453A
	s_add_u32 m0, 0x500, s44                                   // 000000003BDC: 807C2CFF 00000500
	buffer_load_dword v21, s[4:7], 0 offen lds                 // 000000003BE4: E0511000 80010015
	ds_read_b128 a[16:19], v22 offset:1024                     // 000000003BEC: DBFE0400 10000016
	ds_read_b128 a[20:23], v22 offset:1088                     // 000000003BF4: DBFE0440 14000016
	v_mfma_f32_16x16x16_bf16 v[36:39], a[60:61], a[36:37], v[36:39]// 000000003BFC: D3E10024 1C92493C
	s_add_u32 s31, 0x100, s33                                  // 000000003C04: 801F21FF 00000100
	s_cmp_lt_u32 s31, s34                                      // 000000003C0C: BF0A221F
	s_cselect_b32 s40, s40, 0                                  // 000000003C10: 85288028
	s_add_u32 m0, 0, s47                                       // 000000003C14: 807C2F80
	buffer_load_dword v23, s[8:11], 0 offen lds                // 000000003C18: E0511000 80020017
	v_mfma_f32_16x16x16_bf16 v[36:39], a[62:63], a[38:39], v[36:39]// 000000003C20: D3E10024 1C924D3E
	s_add_u32 m0, 0x100, s47                                   // 000000003C28: 807C2FFF 00000100
	buffer_load_dword v24, s[8:11], 0 offen lds                // 000000003C30: E0511000 80020018
	s_add_u32 s4, s40, s4                                      // 000000003C38: 80040428
	s_addc_u32 s5, 0, s5                                       // 000000003C3C: 82050580
	ds_read_b128 a[48:51], v31 offset:18816                    // 000000003C40: DBFE4980 3000001F
	ds_read_b128 a[52:55], v31 offset:18880                    // 000000003C48: DBFE49C0 3400001F
	v_mfma_f32_16x16x16_bf16 v[40:43], a[56:57], a[40:41], v[40:43]// 000000003C50: D3E10028 1CA25138
	s_add_u32 m0, 0x200, s47                                   // 000000003C58: 807C2FFF 00000200
	buffer_load_dword v25, s[8:11], 0 offen lds                // 000000003C60: E0511000 80020019
	v_mfma_f32_16x16x16_bf16 v[40:43], a[58:59], a[42:43], v[40:43]// 000000003C68: D3E10028 1CA2553A
	s_add_u32 m0, 0x300, s47                                   // 000000003C70: 807C2FFF 00000300
	buffer_load_dword v26, s[8:11], 0 offen lds                // 000000003C78: E0511000 8002001A
	v_mfma_f32_16x16x16_bf16 v[40:43], a[60:61], a[44:45], v[40:43]// 000000003C80: D3E10028 1CA2593C
	s_add_u32 m0, 0x400, s47                                   // 000000003C88: 807C2FFF 00000400
	buffer_load_dword v27, s[8:11], 0 offen lds                // 000000003C90: E0511000 8002001B
	v_mfma_f32_16x16x16_bf16 v[40:43], a[62:63], a[46:47], v[40:43]// 000000003C98: D3E10028 1CA25D3E
	s_add_u32 m0, 0x500, s47                                   // 000000003CA0: 807C2FFF 00000500
	buffer_load_dword v28, s[8:11], 0 offen lds                // 000000003CA8: E0511000 8002001C
	s_add_u32 m0, 0x600, s47                                   // 000000003CB0: 807C2FFF 00000600
	buffer_load_dword v29, s[8:11], 0 offen lds                // 000000003CB8: E0511000 8002001D
	s_add_u32 m0, 0x700, s47                                   // 000000003CC0: 807C2FFF 00000700
	buffer_load_dword v30, s[8:11], 0 offen lds                // 000000003CC8: E0511000 8002001E
	s_add_u32 s31, 0x100, s33                                  // 000000003CD0: 801F21FF 00000100
	s_cmp_lt_u32 s31, s34                                      // 000000003CD8: BF0A221F
	s_cselect_b32 s41, s41, 0                                  // 000000003CDC: 85298029
	s_add_u32 s8, s41, s8                                      // 000000003CE0: 80080829
	s_addc_u32 s9, 0, s9                                       // 000000003CE4: 82090980
	s_addk_i32 s33, 0x40                                       // 000000003CE8: B7210040
	s_cmp_lt_i32 s33, s34                                      // 000000003CEC: BF042221
	s_cbranch_scc0 label_0799                                  // 000000003CF0: BF84029C
	s_branch label_0263                                        // 000000003CF4: BF82FD65

0000000000003cf8 <label_04FE>:
	s_waitcnt vmcnt(14) lgkmcnt(0)                             // 000000003CF8: BF8C007E
	s_barrier                                                  // 000000003CFC: BF8A0000
	v_mfma_f32_16x16x16_bf16 v[32:35], a[48:49], a[0:1], v[32:35]// 000000003D00: D3E10020 1C820130
	s_add_u32 m0, 0, s42                                       // 000000003D08: 807C2A80
	buffer_load_dword v16, s[4:7], 0 offen lds                 // 000000003D0C: E0511000 80010010
	ds_read_b128 a[24:27], v22 offset:6272                     // 000000003D14: DBFE1880 18000016
	ds_read_b128 a[28:31], v22 offset:6336                     // 000000003D1C: DBFE18C0 1C000016
	v_mfma_f32_16x16x16_bf16 v[32:35], a[50:51], a[2:3], v[32:35]// 000000003D24: D3E10020 1C820532
	s_add_u32 m0, 0x100, s42                                   // 000000003D2C: 807C2AFF 00000100
	buffer_load_dword v17, s[4:7], 0 offen lds                 // 000000003D34: E0511000 80010011
	v_mfma_f32_16x16x16_bf16 v[32:35], a[52:53], a[4:5], v[32:35]// 000000003D3C: D3E10020 1C820934
	s_add_u32 m0, 0x200, s42                                   // 000000003D44: 807C2AFF 00000200
	buffer_load_dword v18, s[4:7], 0 offen lds                 // 000000003D4C: E0511000 80010012
	ds_read_b128 a[32:35], v22 offset:6784                     // 000000003D54: DBFE1A80 20000016
	ds_read_b128 a[36:39], v22 offset:6848                     // 000000003D5C: DBFE1AC0 24000016
	v_mfma_f32_16x16x16_bf16 v[32:35], a[54:55], a[6:7], v[32:35]// 000000003D64: D3E10020 1C820D36
	s_add_u32 m0, 0x300, s42                                   // 000000003D6C: 807C2AFF 00000300
	buffer_load_dword v19, s[4:7], 0 offen lds                 // 000000003D74: E0511000 80010013
	v_mfma_f32_16x16x16_bf16 v[36:39], a[48:49], a[8:9], v[36:39]// 000000003D7C: D3E10024 1C921130
	s_add_u32 m0, 0x400, s42                                   // 000000003D84: 807C2AFF 00000400
	buffer_load_dword v20, s[4:7], 0 offen lds                 // 000000003D8C: E0511000 80010014
	ds_read_b128 a[40:43], v22 offset:7296                     // 000000003D94: DBFE1C80 28000016
	ds_read_b128 a[44:47], v22 offset:7360                     // 000000003D9C: DBFE1CC0 2C000016
	v_mfma_f32_16x16x16_bf16 v[36:39], a[50:51], a[10:11], v[36:39]// 000000003DA4: D3E10024 1C921532
	s_add_u32 m0, 0x500, s42                                   // 000000003DAC: 807C2AFF 00000500
	buffer_load_dword v21, s[4:7], 0 offen lds                 // 000000003DB4: E0511000 80010015
	v_mfma_f32_16x16x16_bf16 v[36:39], a[52:53], a[12:13], v[36:39]// 000000003DBC: D3E10024 1C921934
	s_add_u32 s31, 0x100, s33                                  // 000000003DC4: 801F21FF 00000100
	s_cmp_lt_u32 s31, s34                                      // 000000003DCC: BF0A221F
	s_cselect_b32 s40, s40, 0                                  // 000000003DD0: 85288028
	s_add_u32 m0, 0, s45                                       // 000000003DD4: 807C2D80
	buffer_load_dword v23, s[8:11], 0 offen lds                // 000000003DD8: E0511000 80020017
	s_add_u32 s4, s40, s4                                      // 000000003DE0: 80040428
	s_addc_u32 s5, 0, s5                                       // 000000003DE4: 82050580
	ds_read_b128 a[56:59], v31 offset:27136                    // 000000003DE8: DBFE6A00 3800001F
	ds_read_b128 a[60:63], v31 offset:27200                    // 000000003DF0: DBFE6A40 3C00001F
	v_mfma_f32_16x16x16_bf16 v[36:39], a[54:55], a[14:15], v[36:39]// 000000003DF8: D3E10024 1C921D36
	s_add_u32 m0, 0x100, s45                                   // 000000003E00: 807C2DFF 00000100
	buffer_load_dword v24, s[8:11], 0 offen lds                // 000000003E08: E0511000 80020018
	v_mfma_f32_16x16x16_bf16 v[40:43], a[48:49], a[16:17], v[40:43]// 000000003E10: D3E10028 1CA22130
	s_add_u32 m0, 0x200, s45                                   // 000000003E18: 807C2DFF 00000200
	buffer_load_dword v25, s[8:11], 0 offen lds                // 000000003E20: E0511000 80020019
	v_mfma_f32_16x16x16_bf16 v[40:43], a[50:51], a[18:19], v[40:43]// 000000003E28: D3E10028 1CA22532
	s_add_u32 m0, 0x300, s45                                   // 000000003E30: 807C2DFF 00000300
	buffer_load_dword v26, s[8:11], 0 offen lds                // 000000003E38: E0511000 8002001A
	v_mfma_f32_16x16x16_bf16 v[40:43], a[52:53], a[20:21], v[40:43]// 000000003E40: D3E10028 1CA22934
	s_add_u32 m0, 0x400, s45                                   // 000000003E48: 807C2DFF 00000400
	buffer_load_dword v27, s[8:11], 0 offen lds                // 000000003E50: E0511000 8002001B
	v_mfma_f32_16x16x16_bf16 v[40:43], a[54:55], a[22:23], v[40:43]// 000000003E58: D3E10028 1CA22D36
	s_add_u32 m0, 0x500, s45                                   // 000000003E60: 807C2DFF 00000500
	buffer_load_dword v28, s[8:11], 0 offen lds                // 000000003E68: E0511000 8002001C
	s_add_u32 m0, 0x600, s45                                   // 000000003E70: 807C2DFF 00000600
	buffer_load_dword v29, s[8:11], 0 offen lds                // 000000003E78: E0511000 8002001D
	s_add_u32 m0, 0x700, s45                                   // 000000003E80: 807C2DFF 00000700
	buffer_load_dword v30, s[8:11], 0 offen lds                // 000000003E88: E0511000 8002001E
	s_add_u32 s31, 0x100, s33                                  // 000000003E90: 801F21FF 00000100
	s_cmp_lt_u32 s31, s34                                      // 000000003E98: BF0A221F
	s_cselect_b32 s41, s41, 0                                  // 000000003E9C: 85298029
	s_add_u32 s8, s41, s8                                      // 000000003EA0: 80080829
	s_addc_u32 s9, 0, s9                                       // 000000003EA4: 82090980
	s_addk_i32 s33, 0x40                                       // 000000003EA8: B7210040
	s_cmp_lt_i32 s33, s34                                      // 000000003EAC: BF042221
	s_cbranch_scc0 label_0799                                  // 000000003EB0: BF84022C
	s_waitcnt vmcnt(14) lgkmcnt(0)                             // 000000003EB4: BF8C007E
	s_barrier                                                  // 000000003EB8: BF8A0000
	v_mfma_f32_16x16x16_bf16 v[32:35], a[56:57], a[24:25], v[32:35]// 000000003EBC: D3E10020 1C823138
	s_add_u32 m0, 0, s43                                       // 000000003EC4: 807C2B80
	buffer_load_dword v16, s[4:7], 0 offen lds                 // 000000003EC8: E0511000 80010010
	ds_read_b128 a[0:3], v22 offset:12544                      // 000000003ED0: DBFE3100 00000016
	ds_read_b128 a[4:7], v22 offset:12608                      // 000000003ED8: DBFE3140 04000016
	v_mfma_f32_16x16x16_bf16 v[32:35], a[58:59], a[26:27], v[32:35]// 000000003EE0: D3E10020 1C82353A
	s_add_u32 m0, 0x100, s43                                   // 000000003EE8: 807C2BFF 00000100
	buffer_load_dword v17, s[4:7], 0 offen lds                 // 000000003EF0: E0511000 80010011
	v_mfma_f32_16x16x16_bf16 v[32:35], a[60:61], a[28:29], v[32:35]// 000000003EF8: D3E10020 1C82393C
	s_add_u32 m0, 0x200, s43                                   // 000000003F00: 807C2BFF 00000200
	buffer_load_dword v18, s[4:7], 0 offen lds                 // 000000003F08: E0511000 80010012
	ds_read_b128 a[8:11], v22 offset:13056                     // 000000003F10: DBFE3300 08000016
	ds_read_b128 a[12:15], v22 offset:13120                    // 000000003F18: DBFE3340 0C000016
	v_mfma_f32_16x16x16_bf16 v[32:35], a[62:63], a[30:31], v[32:35]// 000000003F20: D3E10020 1C823D3E
	s_add_u32 m0, 0x300, s43                                   // 000000003F28: 807C2BFF 00000300
	buffer_load_dword v19, s[4:7], 0 offen lds                 // 000000003F30: E0511000 80010013
	v_mfma_f32_16x16x16_bf16 v[36:39], a[56:57], a[32:33], v[36:39]// 000000003F38: D3E10024 1C924138
	s_add_u32 m0, 0x400, s43                                   // 000000003F40: 807C2BFF 00000400
	buffer_load_dword v20, s[4:7], 0 offen lds                 // 000000003F48: E0511000 80010014
	ds_read_b128 a[16:19], v22 offset:13568                    // 000000003F50: DBFE3500 10000016
	ds_read_b128 a[20:23], v22 offset:13632                    // 000000003F58: DBFE3540 14000016
	v_mfma_f32_16x16x16_bf16 v[36:39], a[58:59], a[34:35], v[36:39]// 000000003F60: D3E10024 1C92453A
	s_add_u32 m0, 0x500, s43                                   // 000000003F68: 807C2BFF 00000500
	buffer_load_dword v21, s[4:7], 0 offen lds                 // 000000003F70: E0511000 80010015
	v_mfma_f32_16x16x16_bf16 v[36:39], a[60:61], a[36:37], v[36:39]// 000000003F78: D3E10024 1C92493C
	s_add_u32 s31, 0x100, s33                                  // 000000003F80: 801F21FF 00000100
	s_cmp_lt_u32 s31, s34                                      // 000000003F88: BF0A221F
	s_cselect_b32 s40, s40, 0                                  // 000000003F8C: 85288028
	s_add_u32 m0, 0, s46                                       // 000000003F90: 807C2E80
	buffer_load_dword v23, s[8:11], 0 offen lds                // 000000003F94: E0511000 80020017
	s_add_u32 s4, s40, s4                                      // 000000003F9C: 80040428
	s_addc_u32 s5, 0, s5                                       // 000000003FA0: 82050580
	ds_read_b128 a[48:51], v31 offset:35456                    // 000000003FA4: DBFE8A80 3000001F
	ds_read_b128 a[52:55], v31 offset:35520                    // 000000003FAC: DBFE8AC0 3400001F
	v_mfma_f32_16x16x16_bf16 v[36:39], a[62:63], a[38:39], v[36:39]// 000000003FB4: D3E10024 1C924D3E
	s_add_u32 m0, 0x100, s46                                   // 000000003FBC: 807C2EFF 00000100
	buffer_load_dword v24, s[8:11], 0 offen lds                // 000000003FC4: E0511000 80020018
	v_mfma_f32_16x16x16_bf16 v[40:43], a[56:57], a[40:41], v[40:43]// 000000003FCC: D3E10028 1CA25138
	s_add_u32 m0, 0x200, s46                                   // 000000003FD4: 807C2EFF 00000200
	buffer_load_dword v25, s[8:11], 0 offen lds                // 000000003FDC: E0511000 80020019
	v_mfma_f32_16x16x16_bf16 v[40:43], a[58:59], a[42:43], v[40:43]// 000000003FE4: D3E10028 1CA2553A
	s_add_u32 m0, 0x300, s46                                   // 000000003FEC: 807C2EFF 00000300
	buffer_load_dword v26, s[8:11], 0 offen lds                // 000000003FF4: E0511000 8002001A
	v_mfma_f32_16x16x16_bf16 v[40:43], a[60:61], a[44:45], v[40:43]// 000000003FFC: D3E10028 1CA2593C
	s_add_u32 m0, 0x400, s46                                   // 000000004004: 807C2EFF 00000400
	buffer_load_dword v27, s[8:11], 0 offen lds                // 00000000400C: E0511000 8002001B
	v_mfma_f32_16x16x16_bf16 v[40:43], a[62:63], a[46:47], v[40:43]// 000000004014: D3E10028 1CA25D3E
	s_add_u32 m0, 0x500, s46                                   // 00000000401C: 807C2EFF 00000500
	buffer_load_dword v28, s[8:11], 0 offen lds                // 000000004024: E0511000 8002001C
	s_add_u32 m0, 0x600, s46                                   // 00000000402C: 807C2EFF 00000600
	buffer_load_dword v29, s[8:11], 0 offen lds                // 000000004034: E0511000 8002001D
	s_add_u32 m0, 0x700, s46                                   // 00000000403C: 807C2EFF 00000700
	buffer_load_dword v30, s[8:11], 0 offen lds                // 000000004044: E0511000 8002001E
	s_add_u32 s31, 0x100, s33                                  // 00000000404C: 801F21FF 00000100
	s_cmp_lt_u32 s31, s34                                      // 000000004054: BF0A221F
	s_cselect_b32 s41, s41, 0                                  // 000000004058: 85298029
	s_add_u32 s8, s41, s8                                      // 00000000405C: 80080829
	s_addc_u32 s9, 0, s9                                       // 000000004060: 82090980
	s_addk_i32 s33, 0x40                                       // 000000004064: B7210040
	s_cmp_lt_i32 s33, s34                                      // 000000004068: BF042221
	s_cbranch_scc0 label_0799                                  // 00000000406C: BF8401BD
	s_waitcnt vmcnt(14) lgkmcnt(0)                             // 000000004070: BF8C007E
	s_barrier                                                  // 000000004074: BF8A0000
	v_mfma_f32_16x16x16_bf16 v[32:35], a[48:49], a[0:1], v[32:35]// 000000004078: D3E10020 1C820130
	s_add_u32 m0, 0, s44                                       // 000000004080: 807C2C80
	buffer_load_dword v16, s[4:7], 0 offen lds                 // 000000004084: E0511000 80010010
	ds_read_b128 a[24:27], v22                                 // 00000000408C: DBFE0000 18000016
	ds_read_b128 a[28:31], v22 offset:64                       // 000000004094: DBFE0040 1C000016
	v_mfma_f32_16x16x16_bf16 v[32:35], a[50:51], a[2:3], v[32:35]// 00000000409C: D3E10020 1C820532
	s_add_u32 m0, 0x100, s44                                   // 0000000040A4: 807C2CFF 00000100
	buffer_load_dword v17, s[4:7], 0 offen lds                 // 0000000040AC: E0511000 80010011
	v_mfma_f32_16x16x16_bf16 v[32:35], a[52:53], a[4:5], v[32:35]// 0000000040B4: D3E10020 1C820934
	s_add_u32 m0, 0x200, s44                                   // 0000000040BC: 807C2CFF 00000200
	buffer_load_dword v18, s[4:7], 0 offen lds                 // 0000000040C4: E0511000 80010012
	ds_read_b128 a[32:35], v22 offset:512                      // 0000000040CC: DBFE0200 20000016
	ds_read_b128 a[36:39], v22 offset:576                      // 0000000040D4: DBFE0240 24000016
	v_mfma_f32_16x16x16_bf16 v[32:35], a[54:55], a[6:7], v[32:35]// 0000000040DC: D3E10020 1C820D36
	s_add_u32 m0, 0x300, s44                                   // 0000000040E4: 807C2CFF 00000300
	buffer_load_dword v19, s[4:7], 0 offen lds                 // 0000000040EC: E0511000 80010013
	v_mfma_f32_16x16x16_bf16 v[36:39], a[48:49], a[8:9], v[36:39]// 0000000040F4: D3E10024 1C921130
	s_add_u32 m0, 0x400, s44                                   // 0000000040FC: 807C2CFF 00000400
	buffer_load_dword v20, s[4:7], 0 offen lds                 // 000000004104: E0511000 80010014
	ds_read_b128 a[40:43], v22 offset:1024                     // 00000000410C: DBFE0400 28000016
	ds_read_b128 a[44:47], v22 offset:1088                     // 000000004114: DBFE0440 2C000016
	v_mfma_f32_16x16x16_bf16 v[36:39], a[50:51], a[10:11], v[36:39]// 00000000411C: D3E10024 1C921532
	s_add_u32 m0, 0x500, s44                                   // 000000004124: 807C2CFF 00000500
	buffer_load_dword v21, s[4:7], 0 offen lds                 // 00000000412C: E0511000 80010015
	v_mfma_f32_16x16x16_bf16 v[36:39], a[52:53], a[12:13], v[36:39]// 000000004134: D3E10024 1C921934
	s_add_u32 s31, 0x100, s33                                  // 00000000413C: 801F21FF 00000100
	s_cmp_lt_u32 s31, s34                                      // 000000004144: BF0A221F
	s_cselect_b32 s40, s40, 0                                  // 000000004148: 85288028
	s_add_u32 m0, 0, s47                                       // 00000000414C: 807C2F80
	buffer_load_dword v23, s[8:11], 0 offen lds                // 000000004150: E0511000 80020017
	s_add_u32 s4, s40, s4                                      // 000000004158: 80040428
	s_addc_u32 s5, 0, s5                                       // 00000000415C: 82050580
	ds_read_b128 a[56:59], v31 offset:18816                    // 000000004160: DBFE4980 3800001F
	ds_read_b128 a[60:63], v31 offset:18880                    // 000000004168: DBFE49C0 3C00001F
	v_mfma_f32_16x16x16_bf16 v[36:39], a[54:55], a[14:15], v[36:39]// 000000004170: D3E10024 1C921D36
	s_add_u32 m0, 0x100, s47                                   // 000000004178: 807C2FFF 00000100
	buffer_load_dword v24, s[8:11], 0 offen lds                // 000000004180: E0511000 80020018
	v_mfma_f32_16x16x16_bf16 v[40:43], a[48:49], a[16:17], v[40:43]// 000000004188: D3E10028 1CA22130
	s_add_u32 m0, 0x200, s47                                   // 000000004190: 807C2FFF 00000200
	buffer_load_dword v25, s[8:11], 0 offen lds                // 000000004198: E0511000 80020019
	v_mfma_f32_16x16x16_bf16 v[40:43], a[50:51], a[18:19], v[40:43]// 0000000041A0: D3E10028 1CA22532
	s_add_u32 m0, 0x300, s47                                   // 0000000041A8: 807C2FFF 00000300
	buffer_load_dword v26, s[8:11], 0 offen lds                // 0000000041B0: E0511000 8002001A
	v_mfma_f32_16x16x16_bf16 v[40:43], a[52:53], a[20:21], v[40:43]// 0000000041B8: D3E10028 1CA22934
	s_add_u32 m0, 0x400, s47                                   // 0000000041C0: 807C2FFF 00000400
	buffer_load_dword v27, s[8:11], 0 offen lds                // 0000000041C8: E0511000 8002001B
	v_mfma_f32_16x16x16_bf16 v[40:43], a[54:55], a[22:23], v[40:43]// 0000000041D0: D3E10028 1CA22D36
	s_add_u32 m0, 0x500, s47                                   // 0000000041D8: 807C2FFF 00000500
	buffer_load_dword v28, s[8:11], 0 offen lds                // 0000000041E0: E0511000 8002001C
	s_add_u32 m0, 0x600, s47                                   // 0000000041E8: 807C2FFF 00000600
	buffer_load_dword v29, s[8:11], 0 offen lds                // 0000000041F0: E0511000 8002001D
	s_add_u32 m0, 0x700, s47                                   // 0000000041F8: 807C2FFF 00000700
	buffer_load_dword v30, s[8:11], 0 offen lds                // 000000004200: E0511000 8002001E
	s_add_u32 s31, 0x100, s33                                  // 000000004208: 801F21FF 00000100
	s_cmp_lt_u32 s31, s34                                      // 000000004210: BF0A221F
	s_cselect_b32 s41, s41, 0                                  // 000000004214: 85298029
	s_add_u32 s8, s41, s8                                      // 000000004218: 80080829
	s_addc_u32 s9, 0, s9                                       // 00000000421C: 82090980
	s_addk_i32 s33, 0x40                                       // 000000004220: B7210040
	s_cmp_lt_i32 s33, s34                                      // 000000004224: BF042221
	s_cbranch_scc0 label_0799                                  // 000000004228: BF84014E
	s_waitcnt vmcnt(14) lgkmcnt(0)                             // 00000000422C: BF8C007E
	s_barrier                                                  // 000000004230: BF8A0000
	v_mfma_f32_16x16x16_bf16 v[32:35], a[56:57], a[24:25], v[32:35]// 000000004234: D3E10020 1C823138
	s_add_u32 m0, 0, s42                                       // 00000000423C: 807C2A80
	buffer_load_dword v16, s[4:7], 0 offen lds                 // 000000004240: E0511000 80010010
	ds_read_b128 a[0:3], v22 offset:6272                       // 000000004248: DBFE1880 00000016
	ds_read_b128 a[4:7], v22 offset:6336                       // 000000004250: DBFE18C0 04000016
	v_mfma_f32_16x16x16_bf16 v[32:35], a[58:59], a[26:27], v[32:35]// 000000004258: D3E10020 1C82353A
	s_add_u32 m0, 0x100, s42                                   // 000000004260: 807C2AFF 00000100
	buffer_load_dword v17, s[4:7], 0 offen lds                 // 000000004268: E0511000 80010011
	v_mfma_f32_16x16x16_bf16 v[32:35], a[60:61], a[28:29], v[32:35]// 000000004270: D3E10020 1C82393C
	s_add_u32 m0, 0x200, s42                                   // 000000004278: 807C2AFF 00000200
	buffer_load_dword v18, s[4:7], 0 offen lds                 // 000000004280: E0511000 80010012
	ds_read_b128 a[8:11], v22 offset:6784                      // 000000004288: DBFE1A80 08000016
	ds_read_b128 a[12:15], v22 offset:6848                     // 000000004290: DBFE1AC0 0C000016
	v_mfma_f32_16x16x16_bf16 v[32:35], a[62:63], a[30:31], v[32:35]// 000000004298: D3E10020 1C823D3E
	s_add_u32 m0, 0x300, s42                                   // 0000000042A0: 807C2AFF 00000300
	buffer_load_dword v19, s[4:7], 0 offen lds                 // 0000000042A8: E0511000 80010013
	v_mfma_f32_16x16x16_bf16 v[36:39], a[56:57], a[32:33], v[36:39]// 0000000042B0: D3E10024 1C924138
	s_add_u32 m0, 0x400, s42                                   // 0000000042B8: 807C2AFF 00000400
	buffer_load_dword v20, s[4:7], 0 offen lds                 // 0000000042C0: E0511000 80010014
	ds_read_b128 a[16:19], v22 offset:7296                     // 0000000042C8: DBFE1C80 10000016
	ds_read_b128 a[20:23], v22 offset:7360                     // 0000000042D0: DBFE1CC0 14000016
	v_mfma_f32_16x16x16_bf16 v[36:39], a[58:59], a[34:35], v[36:39]// 0000000042D8: D3E10024 1C92453A
	s_add_u32 m0, 0x500, s42                                   // 0000000042E0: 807C2AFF 00000500
	buffer_load_dword v21, s[4:7], 0 offen lds                 // 0000000042E8: E0511000 80010015
	v_mfma_f32_16x16x16_bf16 v[36:39], a[60:61], a[36:37], v[36:39]// 0000000042F0: D3E10024 1C92493C
	s_add_u32 s31, 0x100, s33                                  // 0000000042F8: 801F21FF 00000100
	s_cmp_lt_u32 s31, s34                                      // 000000004300: BF0A221F
	s_cselect_b32 s40, s40, 0                                  // 000000004304: 85288028
	s_add_u32 m0, 0, s45                                       // 000000004308: 807C2D80
	buffer_load_dword v23, s[8:11], 0 offen lds                // 00000000430C: E0511000 80020017
	s_add_u32 s4, s40, s4                                      // 000000004314: 80040428
	s_addc_u32 s5, 0, s5                                       // 000000004318: 82050580
	ds_read_b128 a[48:51], v31 offset:27136                    // 00000000431C: DBFE6A00 3000001F
	ds_read_b128 a[52:55], v31 offset:27200                    // 000000004324: DBFE6A40 3400001F
	v_mfma_f32_16x16x16_bf16 v[36:39], a[62:63], a[38:39], v[36:39]// 00000000432C: D3E10024 1C924D3E
	s_add_u32 m0, 0x100, s45                                   // 000000004334: 807C2DFF 00000100
	buffer_load_dword v24, s[8:11], 0 offen lds                // 00000000433C: E0511000 80020018
	v_mfma_f32_16x16x16_bf16 v[40:43], a[56:57], a[40:41], v[40:43]// 000000004344: D3E10028 1CA25138
	s_add_u32 m0, 0x200, s45                                   // 00000000434C: 807C2DFF 00000200
	buffer_load_dword v25, s[8:11], 0 offen lds                // 000000004354: E0511000 80020019
	v_mfma_f32_16x16x16_bf16 v[40:43], a[58:59], a[42:43], v[40:43]// 00000000435C: D3E10028 1CA2553A
	s_add_u32 m0, 0x300, s45                                   // 000000004364: 807C2DFF 00000300
	buffer_load_dword v26, s[8:11], 0 offen lds                // 00000000436C: E0511000 8002001A
	v_mfma_f32_16x16x16_bf16 v[40:43], a[60:61], a[44:45], v[40:43]// 000000004374: D3E10028 1CA2593C
	s_add_u32 m0, 0x400, s45                                   // 00000000437C: 807C2DFF 00000400
	buffer_load_dword v27, s[8:11], 0 offen lds                // 000000004384: E0511000 8002001B
	v_mfma_f32_16x16x16_bf16 v[40:43], a[62:63], a[46:47], v[40:43]// 00000000438C: D3E10028 1CA25D3E
	s_add_u32 m0, 0x500, s45                                   // 000000004394: 807C2DFF 00000500
	buffer_load_dword v28, s[8:11], 0 offen lds                // 00000000439C: E0511000 8002001C
	s_add_u32 m0, 0x600, s45                                   // 0000000043A4: 807C2DFF 00000600
	buffer_load_dword v29, s[8:11], 0 offen lds                // 0000000043AC: E0511000 8002001D
	s_add_u32 m0, 0x700, s45                                   // 0000000043B4: 807C2DFF 00000700
	buffer_load_dword v30, s[8:11], 0 offen lds                // 0000000043BC: E0511000 8002001E
	s_add_u32 s31, 0x100, s33                                  // 0000000043C4: 801F21FF 00000100
	s_cmp_lt_u32 s31, s34                                      // 0000000043CC: BF0A221F
	s_cselect_b32 s41, s41, 0                                  // 0000000043D0: 85298029
	s_add_u32 s8, s41, s8                                      // 0000000043D4: 80080829
	s_addc_u32 s9, 0, s9                                       // 0000000043D8: 82090980
	s_addk_i32 s33, 0x40                                       // 0000000043DC: B7210040
	s_cmp_lt_i32 s33, s34                                      // 0000000043E0: BF042221
	s_cbranch_scc0 label_0799                                  // 0000000043E4: BF8400DF
	s_waitcnt vmcnt(14) lgkmcnt(0)                             // 0000000043E8: BF8C007E
	s_barrier                                                  // 0000000043EC: BF8A0000
	v_mfma_f32_16x16x16_bf16 v[32:35], a[48:49], a[0:1], v[32:35]// 0000000043F0: D3E10020 1C820130
	s_add_u32 m0, 0, s43                                       // 0000000043F8: 807C2B80
	buffer_load_dword v16, s[4:7], 0 offen lds                 // 0000000043FC: E0511000 80010010
	ds_read_b128 a[24:27], v22 offset:12544                    // 000000004404: DBFE3100 18000016
	ds_read_b128 a[28:31], v22 offset:12608                    // 00000000440C: DBFE3140 1C000016
	v_mfma_f32_16x16x16_bf16 v[32:35], a[50:51], a[2:3], v[32:35]// 000000004414: D3E10020 1C820532
	s_add_u32 m0, 0x100, s43                                   // 00000000441C: 807C2BFF 00000100
	buffer_load_dword v17, s[4:7], 0 offen lds                 // 000000004424: E0511000 80010011
	v_mfma_f32_16x16x16_bf16 v[32:35], a[52:53], a[4:5], v[32:35]// 00000000442C: D3E10020 1C820934
	s_add_u32 m0, 0x200, s43                                   // 000000004434: 807C2BFF 00000200
	buffer_load_dword v18, s[4:7], 0 offen lds                 // 00000000443C: E0511000 80010012
	ds_read_b128 a[32:35], v22 offset:13056                    // 000000004444: DBFE3300 20000016
	ds_read_b128 a[36:39], v22 offset:13120                    // 00000000444C: DBFE3340 24000016
	v_mfma_f32_16x16x16_bf16 v[32:35], a[54:55], a[6:7], v[32:35]// 000000004454: D3E10020 1C820D36
	s_add_u32 m0, 0x300, s43                                   // 00000000445C: 807C2BFF 00000300
	buffer_load_dword v19, s[4:7], 0 offen lds                 // 000000004464: E0511000 80010013
	v_mfma_f32_16x16x16_bf16 v[36:39], a[48:49], a[8:9], v[36:39]// 00000000446C: D3E10024 1C921130
	s_add_u32 m0, 0x400, s43                                   // 000000004474: 807C2BFF 00000400
	buffer_load_dword v20, s[4:7], 0 offen lds                 // 00000000447C: E0511000 80010014
	ds_read_b128 a[40:43], v22 offset:13568                    // 000000004484: DBFE3500 28000016
	ds_read_b128 a[44:47], v22 offset:13632                    // 00000000448C: DBFE3540 2C000016
	v_mfma_f32_16x16x16_bf16 v[36:39], a[50:51], a[10:11], v[36:39]// 000000004494: D3E10024 1C921532
	s_add_u32 m0, 0x500, s43                                   // 00000000449C: 807C2BFF 00000500
	buffer_load_dword v21, s[4:7], 0 offen lds                 // 0000000044A4: E0511000 80010015
	v_mfma_f32_16x16x16_bf16 v[36:39], a[52:53], a[12:13], v[36:39]// 0000000044AC: D3E10024 1C921934
	s_add_u32 s31, 0x100, s33                                  // 0000000044B4: 801F21FF 00000100
	s_cmp_lt_u32 s31, s34                                      // 0000000044BC: BF0A221F
	s_cselect_b32 s40, s40, 0                                  // 0000000044C0: 85288028
	s_add_u32 m0, 0, s46                                       // 0000000044C4: 807C2E80
	buffer_load_dword v23, s[8:11], 0 offen lds                // 0000000044C8: E0511000 80020017
	s_add_u32 s4, s40, s4                                      // 0000000044D0: 80040428
	s_addc_u32 s5, 0, s5                                       // 0000000044D4: 82050580
	ds_read_b128 a[56:59], v31 offset:35456                    // 0000000044D8: DBFE8A80 3800001F
	ds_read_b128 a[60:63], v31 offset:35520                    // 0000000044E0: DBFE8AC0 3C00001F
	v_mfma_f32_16x16x16_bf16 v[36:39], a[54:55], a[14:15], v[36:39]// 0000000044E8: D3E10024 1C921D36
	s_add_u32 m0, 0x100, s46                                   // 0000000044F0: 807C2EFF 00000100
	buffer_load_dword v24, s[8:11], 0 offen lds                // 0000000044F8: E0511000 80020018
	v_mfma_f32_16x16x16_bf16 v[40:43], a[48:49], a[16:17], v[40:43]// 000000004500: D3E10028 1CA22130
	s_add_u32 m0, 0x200, s46                                   // 000000004508: 807C2EFF 00000200
	buffer_load_dword v25, s[8:11], 0 offen lds                // 000000004510: E0511000 80020019
	v_mfma_f32_16x16x16_bf16 v[40:43], a[50:51], a[18:19], v[40:43]// 000000004518: D3E10028 1CA22532
	s_add_u32 m0, 0x300, s46                                   // 000000004520: 807C2EFF 00000300
	buffer_load_dword v26, s[8:11], 0 offen lds                // 000000004528: E0511000 8002001A
	v_mfma_f32_16x16x16_bf16 v[40:43], a[52:53], a[20:21], v[40:43]// 000000004530: D3E10028 1CA22934
	s_add_u32 m0, 0x400, s46                                   // 000000004538: 807C2EFF 00000400
	buffer_load_dword v27, s[8:11], 0 offen lds                // 000000004540: E0511000 8002001B
	v_mfma_f32_16x16x16_bf16 v[40:43], a[54:55], a[22:23], v[40:43]// 000000004548: D3E10028 1CA22D36
	s_add_u32 m0, 0x500, s46                                   // 000000004550: 807C2EFF 00000500
	buffer_load_dword v28, s[8:11], 0 offen lds                // 000000004558: E0511000 8002001C
	s_add_u32 m0, 0x600, s46                                   // 000000004560: 807C2EFF 00000600
	buffer_load_dword v29, s[8:11], 0 offen lds                // 000000004568: E0511000 8002001D
	s_add_u32 m0, 0x700, s46                                   // 000000004570: 807C2EFF 00000700
	buffer_load_dword v30, s[8:11], 0 offen lds                // 000000004578: E0511000 8002001E
	s_add_u32 s31, 0x100, s33                                  // 000000004580: 801F21FF 00000100
	s_cmp_lt_u32 s31, s34                                      // 000000004588: BF0A221F
	s_cselect_b32 s41, s41, 0                                  // 00000000458C: 85298029
	s_add_u32 s8, s41, s8                                      // 000000004590: 80080829
	s_addc_u32 s9, 0, s9                                       // 000000004594: 82090980
	s_addk_i32 s33, 0x40                                       // 000000004598: B7210040
	s_cmp_lt_i32 s33, s34                                      // 00000000459C: BF042221
	s_cbranch_scc0 label_0799                                  // 0000000045A0: BF840070
	s_waitcnt vmcnt(14) lgkmcnt(0)                             // 0000000045A4: BF8C007E
	s_barrier                                                  // 0000000045A8: BF8A0000
	v_mfma_f32_16x16x16_bf16 v[32:35], a[56:57], a[24:25], v[32:35]// 0000000045AC: D3E10020 1C823138
	s_add_u32 m0, 0, s44                                       // 0000000045B4: 807C2C80
	buffer_load_dword v16, s[4:7], 0 offen lds                 // 0000000045B8: E0511000 80010010
	ds_read_b128 a[0:3], v22                                   // 0000000045C0: DBFE0000 00000016
	ds_read_b128 a[4:7], v22 offset:64                         // 0000000045C8: DBFE0040 04000016
	v_mfma_f32_16x16x16_bf16 v[32:35], a[58:59], a[26:27], v[32:35]// 0000000045D0: D3E10020 1C82353A
	s_add_u32 m0, 0x100, s44                                   // 0000000045D8: 807C2CFF 00000100
	buffer_load_dword v17, s[4:7], 0 offen lds                 // 0000000045E0: E0511000 80010011
	v_mfma_f32_16x16x16_bf16 v[32:35], a[60:61], a[28:29], v[32:35]// 0000000045E8: D3E10020 1C82393C
	s_add_u32 m0, 0x200, s44                                   // 0000000045F0: 807C2CFF 00000200
	buffer_load_dword v18, s[4:7], 0 offen lds                 // 0000000045F8: E0511000 80010012
	ds_read_b128 a[8:11], v22 offset:512                       // 000000004600: DBFE0200 08000016
	ds_read_b128 a[12:15], v22 offset:576                      // 000000004608: DBFE0240 0C000016
	v_mfma_f32_16x16x16_bf16 v[32:35], a[62:63], a[30:31], v[32:35]// 000000004610: D3E10020 1C823D3E
	s_add_u32 m0, 0x300, s44                                   // 000000004618: 807C2CFF 00000300
	buffer_load_dword v19, s[4:7], 0 offen lds                 // 000000004620: E0511000 80010013
	v_mfma_f32_16x16x16_bf16 v[36:39], a[56:57], a[32:33], v[36:39]// 000000004628: D3E10024 1C924138
	s_add_u32 m0, 0x400, s44                                   // 000000004630: 807C2CFF 00000400
	buffer_load_dword v20, s[4:7], 0 offen lds                 // 000000004638: E0511000 80010014
	ds_read_b128 a[16:19], v22 offset:1024                     // 000000004640: DBFE0400 10000016
	ds_read_b128 a[20:23], v22 offset:1088                     // 000000004648: DBFE0440 14000016
	v_mfma_f32_16x16x16_bf16 v[36:39], a[58:59], a[34:35], v[36:39]// 000000004650: D3E10024 1C92453A
	s_add_u32 m0, 0x500, s44                                   // 000000004658: 807C2CFF 00000500
	buffer_load_dword v21, s[4:7], 0 offen lds                 // 000000004660: E0511000 80010015
	v_mfma_f32_16x16x16_bf16 v[36:39], a[60:61], a[36:37], v[36:39]// 000000004668: D3E10024 1C92493C
	s_add_u32 s31, 0x100, s33                                  // 000000004670: 801F21FF 00000100
	s_cmp_lt_u32 s31, s34                                      // 000000004678: BF0A221F
	s_cselect_b32 s40, s40, 0                                  // 00000000467C: 85288028
	s_add_u32 m0, 0, s47                                       // 000000004680: 807C2F80
	buffer_load_dword v23, s[8:11], 0 offen lds                // 000000004684: E0511000 80020017
	s_add_u32 s4, s40, s4                                      // 00000000468C: 80040428
	s_addc_u32 s5, 0, s5                                       // 000000004690: 82050580
	ds_read_b128 a[48:51], v31 offset:18816                    // 000000004694: DBFE4980 3000001F
	ds_read_b128 a[52:55], v31 offset:18880                    // 00000000469C: DBFE49C0 3400001F
	v_mfma_f32_16x16x16_bf16 v[36:39], a[62:63], a[38:39], v[36:39]// 0000000046A4: D3E10024 1C924D3E
	s_add_u32 m0, 0x100, s47                                   // 0000000046AC: 807C2FFF 00000100
	buffer_load_dword v24, s[8:11], 0 offen lds                // 0000000046B4: E0511000 80020018
	v_mfma_f32_16x16x16_bf16 v[40:43], a[56:57], a[40:41], v[40:43]// 0000000046BC: D3E10028 1CA25138
	s_add_u32 m0, 0x200, s47                                   // 0000000046C4: 807C2FFF 00000200
	buffer_load_dword v25, s[8:11], 0 offen lds                // 0000000046CC: E0511000 80020019
	v_mfma_f32_16x16x16_bf16 v[40:43], a[58:59], a[42:43], v[40:43]// 0000000046D4: D3E10028 1CA2553A
	s_add_u32 m0, 0x300, s47                                   // 0000000046DC: 807C2FFF 00000300
	buffer_load_dword v26, s[8:11], 0 offen lds                // 0000000046E4: E0511000 8002001A
	v_mfma_f32_16x16x16_bf16 v[40:43], a[60:61], a[44:45], v[40:43]// 0000000046EC: D3E10028 1CA2593C
	s_add_u32 m0, 0x400, s47                                   // 0000000046F4: 807C2FFF 00000400
	buffer_load_dword v27, s[8:11], 0 offen lds                // 0000000046FC: E0511000 8002001B
	v_mfma_f32_16x16x16_bf16 v[40:43], a[62:63], a[46:47], v[40:43]// 000000004704: D3E10028 1CA25D3E
	s_add_u32 m0, 0x500, s47                                   // 00000000470C: 807C2FFF 00000500
	buffer_load_dword v28, s[8:11], 0 offen lds                // 000000004714: E0511000 8002001C
	s_add_u32 m0, 0x600, s47                                   // 00000000471C: 807C2FFF 00000600
	buffer_load_dword v29, s[8:11], 0 offen lds                // 000000004724: E0511000 8002001D
	s_add_u32 m0, 0x700, s47                                   // 00000000472C: 807C2FFF 00000700
	buffer_load_dword v30, s[8:11], 0 offen lds                // 000000004734: E0511000 8002001E
	s_add_u32 s31, 0x100, s33                                  // 00000000473C: 801F21FF 00000100
	s_cmp_lt_u32 s31, s34                                      // 000000004744: BF0A221F
	s_cselect_b32 s41, s41, 0                                  // 000000004748: 85298029
	s_add_u32 s8, s41, s8                                      // 00000000474C: 80080829
	s_addc_u32 s9, 0, s9                                       // 000000004750: 82090980
	s_addk_i32 s33, 0x40                                       // 000000004754: B7210040
	s_cmp_lt_i32 s33, s34                                      // 000000004758: BF042221
	s_cbranch_scc0 label_0799                                  // 00000000475C: BF840001
	s_branch label_04FE                                        // 000000004760: BF82FD65

0000000000004764 <label_0799>:
	s_cmp_le_u32 s48, 1                                        // 000000004764: BF0B8130
	s_cbranch_scc1 label_0A46                                  // 000000004768: BF8502AB
	s_mov_b32 s31, 48                                          // 00000000476C: BE9F00B0
	s_cmp_lt_u32 s51, s31                                      // 000000004770: BF0A1F33
	s_cbranch_scc1 label_08A7                                  // 000000004774: BF850109
	v_mov_b32_e32 v5, 0                                        // 000000004778: 7E0A0280
	s_and_b32 s17, s17, 0xffff                                 // 00000000477C: 8611FF11 0000FFFF
	s_cmp_lt_u32 s50, 1                                        // 000000004784: BF0A8132
	s_cbranch_scc0 label_080C                                  // 000000004788: BF840069
	v_lshrrev_b32_e32 v4, 4, v0                                // 00000000478C: 20080084
	v_mul_u32_u24_e32 v22, 0x44, v4                            // 000000004790: 102C08FF 00000044
	v_and_b32_e32 v4, 15, v0                                   // 000000004798: 2608008F
	v_mul_lo_u32 v5, 4, v4                                     // 00000000479C: D2850005 00020884
	v_add_u32_e32 v22, v5, v22                                 // 0000000047A4: 682C2D05
	s_mul_i32 s31, s24, 0x110                                  // 0000000047A8: 921FFF18 00000110
	v_add_u32_e32 v22, s31, v22                                // 0000000047B0: 682C2C1F
	v_lshlrev_b32_e32 v22, 2, v22                              // 0000000047B4: 242C2C82
	v_lshrrev_b32_e32 v4, 2, v0                                // 0000000047B8: 20080082
	v_mul_u32_u24_e32 v31, 0x44, v4                            // 0000000047BC: 103E08FF 00000044
	v_and_b32_e32 v4, 3, v0                                    // 0000000047C4: 26080083
	v_add_u32_e32 v31, v4, v31                                 // 0000000047C8: 683E3F04
	s_mul_i32 s31, s24, 4                                      // 0000000047CC: 921F8418
	v_add_u32_e32 v31, s31, v31                                // 0000000047D0: 683E3E1F
	v_lshlrev_b32_e32 v31, 2, v31                              // 0000000047D4: 243E3E82
	s_waitcnt vmcnt(0) expcnt(0) lgkmcnt(0)                    // 0000000047D8: BF8C0000
	s_barrier                                                  // 0000000047DC: BF8A0000
	ds_write_b128 v22, v[32:35]                                // 0000000047E0: D9BE0000 00002016
	ds_write_b128 v22, v[36:39] offset:4352                    // 0000000047E8: D9BE1100 00002416
	ds_write_b128 v22, v[40:43] offset:8704                    // 0000000047F0: D9BE2200 00002816
	s_waitcnt lgkmcnt(0)                                       // 0000000047F8: BF8CC07F
	s_barrier                                                  // 0000000047FC: BF8A0000
	ds_read_b32 v32, v31                                       // 000000004800: D86C0000 2000001F
	ds_read_b32 v33, v31 offset:64                             // 000000004808: D86C0040 2100001F
	ds_read_b32 v34, v31 offset:128                            // 000000004810: D86C0080 2200001F
	ds_read_b32 v35, v31 offset:192                            // 000000004818: D86C00C0 2300001F
	ds_read_b32 v36, v31 offset:4352                           // 000000004820: D86C1100 2400001F
	ds_read_b32 v37, v31 offset:4416                           // 000000004828: D86C1140 2500001F
	ds_read_b32 v38, v31 offset:4480                           // 000000004830: D86C1180 2600001F
	ds_read_b32 v39, v31 offset:4544                           // 000000004838: D86C11C0 2700001F
	ds_read_b32 v40, v31 offset:8704                           // 000000004840: D86C2200 2800001F
	ds_read_b32 v41, v31 offset:8768                           // 000000004848: D86C2240 2900001F
	ds_read_b32 v42, v31 offset:8832                           // 000000004850: D86C2280 2A00001F
	ds_read_b32 v43, v31 offset:8896                           // 000000004858: D86C22C0 2B00001F
	s_waitcnt lgkmcnt(0)                                       // 000000004860: BF8CC07F
	s_mul_i32 s31, s30, 4                                      // 000000004864: 921F841E
	v_mov_b32_e32 v4, v15                                      // 000000004868: 7E08030F
	global_atomic_add_f32 v4, v32, s[16:17]                    // 00000000486C: DD348000 00102004
	v_add_u32_e64 v4, v4, s31                                  // 000000004874: D1340004 00003F04
	global_atomic_add_f32 v4, v33, s[16:17]                    // 00000000487C: DD348000 00102104
	v_add_u32_e64 v4, v4, s31                                  // 000000004884: D1340004 00003F04
	global_atomic_add_f32 v4, v34, s[16:17]                    // 00000000488C: DD348000 00102204
	v_add_u32_e64 v4, v4, s31                                  // 000000004894: D1340004 00003F04
	global_atomic_add_f32 v4, v35, s[16:17]                    // 00000000489C: DD348000 00102304
	v_add_u32_e64 v4, v4, s31                                  // 0000000048A4: D1340004 00003F04
	global_atomic_add_f32 v4, v36, s[16:17]                    // 0000000048AC: DD348000 00102404
	v_add_u32_e64 v4, v4, s31                                  // 0000000048B4: D1340004 00003F04
	global_atomic_add_f32 v4, v37, s[16:17]                    // 0000000048BC: DD348000 00102504
	v_add_u32_e64 v4, v4, s31                                  // 0000000048C4: D1340004 00003F04
	global_atomic_add_f32 v4, v38, s[16:17]                    // 0000000048CC: DD348000 00102604
	v_add_u32_e64 v4, v4, s31                                  // 0000000048D4: D1340004 00003F04
	global_atomic_add_f32 v4, v39, s[16:17]                    // 0000000048DC: DD348000 00102704
	v_add_u32_e64 v4, v4, s31                                  // 0000000048E4: D1340004 00003F04
	global_atomic_add_f32 v4, v40, s[16:17]                    // 0000000048EC: DD348000 00102804
	v_add_u32_e64 v4, v4, s31                                  // 0000000048F4: D1340004 00003F04
	global_atomic_add_f32 v4, v41, s[16:17]                    // 0000000048FC: DD348000 00102904
	v_add_u32_e64 v4, v4, s31                                  // 000000004904: D1340004 00003F04
	global_atomic_add_f32 v4, v42, s[16:17]                    // 00000000490C: DD348000 00102A04
	v_add_u32_e64 v4, v4, s31                                  // 000000004914: D1340004 00003F04
	global_atomic_add_f32 v4, v43, s[16:17]                    // 00000000491C: DD348000 00102B04
	v_add_u32_e64 v4, v4, s31                                  // 000000004924: D1340004 00003F04
	s_branch label_0AA9                                        // 00000000492C: BF82029D

0000000000004930 <label_080C>:
	v_lshrrev_b32_e32 v4, 4, v0                                // 000000004930: 20080084
	v_mul_u32_u24_e32 v22, 34, v4                              // 000000004934: 102C08A2
	v_and_b32_e32 v4, 15, v0                                   // 000000004938: 2608008F
	v_mul_lo_u32 v5, 2, v4                                     // 00000000493C: D2850005 00020882
	v_add_u32_e32 v22, v5, v22                                 // 000000004944: 682C2D05
	s_mul_i32 s31, s24, 0x88                                   // 000000004948: 921FFF18 00000088
	v_add_u32_e32 v22, s31, v22                                // 000000004950: 682C2C1F
	v_lshlrev_b32_e32 v22, 2, v22                              // 000000004954: 242C2C82
	v_and_b32_e32 v4, 31, v0                                   // 000000004958: 2608009F
	v_lshrrev_b32_e32 v5, 1, v4                                // 00000000495C: 200A0881
	v_mul_u32_u24_e32 v31, 34, v5                              // 000000004960: 103E0AA2
	v_and_b32_e32 v5, 1, v4                                    // 000000004964: 260A0881
	v_add_u32_e32 v31, v5, v31                                 // 000000004968: 683E3F05
	v_lshrrev_b32_e32 v4, 5, v0                                // 00000000496C: 20080085
	v_mul_u32_u24_e32 v4, 8, v4                                // 000000004970: 10080888
	v_add_u32_e32 v31, v4, v31                                 // 000000004974: 683E3F04
	s_mul_i32 s31, s24, 2                                      // 000000004978: 921F8218
	v_add_u32_e32 v31, s31, v31                                // 00000000497C: 683E3E1F
	v_lshlrev_b32_e32 v31, 2, v31                              // 000000004980: 243E3E82
	s_waitcnt vmcnt(0) expcnt(0) lgkmcnt(0)                    // 000000004984: BF8C0000
	s_barrier                                                  // 000000004988: BF8A0000
	v_cmp_u_f32_e64 s[56:57], v32, v32                         // 00000000498C: D0480038 00024120
	v_add3_u32 v8, v32, v11, 1                                 // 000000004994: D1FF0008 02061720
	v_cndmask_b32_e64 v4, v8, v10, s[56:57]                    // 00000000499C: D1000004 00E21508
	v_cmp_u_f32_e64 s[56:57], v33, v33                         // 0000000049A4: D0480038 00024321
	v_add3_u32 v8, v33, v11, 1                                 // 0000000049AC: D1FF0008 02061721
	v_cndmask_b32_e64 v5, v8, v10, s[56:57]                    // 0000000049B4: D1000005 00E21508
	v_perm_b32 v44, v5, v4, s35                                // 0000000049BC: D1ED002C 008E0905
	v_cmp_u_f32_e64 s[56:57], v34, v34                         // 0000000049C4: D0480038 00024522
	v_add3_u32 v8, v34, v11, 1                                 // 0000000049CC: D1FF0008 02061722
	v_cndmask_b32_e64 v4, v8, v10, s[56:57]                    // 0000000049D4: D1000004 00E21508
	v_cmp_u_f32_e64 s[56:57], v35, v35                         // 0000000049DC: D0480038 00024723
	v_add3_u32 v8, v35, v11, 1                                 // 0000000049E4: D1FF0008 02061723
	v_cndmask_b32_e64 v5, v8, v10, s[56:57]                    // 0000000049EC: D1000005 00E21508
	v_perm_b32 v45, v5, v4, s35                                // 0000000049F4: D1ED002D 008E0905
	v_cmp_u_f32_e64 s[56:57], v36, v36                         // 0000000049FC: D0480038 00024924
	v_add3_u32 v8, v36, v11, 1                                 // 000000004A04: D1FF0008 02061724
	v_cndmask_b32_e64 v4, v8, v10, s[56:57]                    // 000000004A0C: D1000004 00E21508
	v_cmp_u_f32_e64 s[56:57], v37, v37                         // 000000004A14: D0480038 00024B25
	v_add3_u32 v8, v37, v11, 1                                 // 000000004A1C: D1FF0008 02061725
	v_cndmask_b32_e64 v5, v8, v10, s[56:57]                    // 000000004A24: D1000005 00E21508
	v_perm_b32 v46, v5, v4, s35                                // 000000004A2C: D1ED002E 008E0905
	v_cmp_u_f32_e64 s[56:57], v38, v38                         // 000000004A34: D0480038 00024D26
	v_add3_u32 v8, v38, v11, 1                                 // 000000004A3C: D1FF0008 02061726
	v_cndmask_b32_e64 v4, v8, v10, s[56:57]                    // 000000004A44: D1000004 00E21508
	v_cmp_u_f32_e64 s[56:57], v39, v39                         // 000000004A4C: D0480038 00024F27
	v_add3_u32 v8, v39, v11, 1                                 // 000000004A54: D1FF0008 02061727
	v_cndmask_b32_e64 v5, v8, v10, s[56:57]                    // 000000004A5C: D1000005 00E21508
	v_perm_b32 v47, v5, v4, s35                                // 000000004A64: D1ED002F 008E0905
	v_cmp_u_f32_e64 s[56:57], v40, v40                         // 000000004A6C: D0480038 00025128
	v_add3_u32 v8, v40, v11, 1                                 // 000000004A74: D1FF0008 02061728
	v_cndmask_b32_e64 v4, v8, v10, s[56:57]                    // 000000004A7C: D1000004 00E21508
	v_cmp_u_f32_e64 s[56:57], v41, v41                         // 000000004A84: D0480038 00025329
	v_add3_u32 v8, v41, v11, 1                                 // 000000004A8C: D1FF0008 02061729
	v_cndmask_b32_e64 v5, v8, v10, s[56:57]                    // 000000004A94: D1000005 00E21508
	v_perm_b32 v48, v5, v4, s35                                // 000000004A9C: D1ED0030 008E0905
	v_cmp_u_f32_e64 s[56:57], v42, v42                         // 000000004AA4: D0480038 0002552A
	v_add3_u32 v8, v42, v11, 1                                 // 000000004AAC: D1FF0008 0206172A
	v_cndmask_b32_e64 v4, v8, v10, s[56:57]                    // 000000004AB4: D1000004 00E21508
	v_cmp_u_f32_e64 s[56:57], v43, v43                         // 000000004ABC: D0480038 0002572B
	v_add3_u32 v8, v43, v11, 1                                 // 000000004AC4: D1FF0008 0206172B
	v_cndmask_b32_e64 v5, v8, v10, s[56:57]                    // 000000004ACC: D1000005 00E21508
	v_perm_b32 v49, v5, v4, s35                                // 000000004AD4: D1ED0031 008E0905
	ds_write_b64 v22, v[44:45]                                 // 000000004ADC: D89A0000 00002C16
	ds_write_b64 v22, v[46:47] offset:2176                     // 000000004AE4: D89A0880 00002E16
	ds_write_b64 v22, v[48:49] offset:4352                     // 000000004AEC: D89A1100 00003016
	s_waitcnt lgkmcnt(0)                                       // 000000004AF4: BF8CC07F
	s_barrier                                                  // 000000004AF8: BF8A0000
	ds_read_b32 v44, v31                                       // 000000004AFC: D86C0000 2C00001F
	ds_read_b32 v45, v31 offset:64                             // 000000004B04: D86C0040 2D00001F
	ds_read_b32 v46, v31 offset:2176                           // 000000004B0C: D86C0880 2E00001F
	ds_read_b32 v47, v31 offset:2240                           // 000000004B14: D86C08C0 2F00001F
	ds_read_b32 v48, v31 offset:4352                           // 000000004B1C: D86C1100 3000001F
	ds_read_b32 v49, v31 offset:4416                           // 000000004B24: D86C1140 3100001F
	s_waitcnt lgkmcnt(0)                                       // 000000004B2C: BF8CC07F
	s_mul_i32 s31, s30, 8                                      // 000000004B30: 921F881E
	v_mov_b32_e32 v4, v15                                      // 000000004B34: 7E08030F
	global_atomic_pk_add_bf16 v4, v44, s[16:17]                // 000000004B38: DD488000 00102C04
	v_add_u32_e64 v4, v4, s31                                  // 000000004B40: D1340004 00003F04
	global_atomic_pk_add_bf16 v4, v45, s[16:17]                // 000000004B48: DD488000 00102D04
	v_add_u32_e64 v4, v4, s31                                  // 000000004B50: D1340004 00003F04
	global_atomic_pk_add_bf16 v4, v46, s[16:17]                // 000000004B58: DD488000 00102E04
	v_add_u32_e64 v4, v4, s31                                  // 000000004B60: D1340004 00003F04
	global_atomic_pk_add_bf16 v4, v47, s[16:17]                // 000000004B68: DD488000 00102F04
	v_add_u32_e64 v4, v4, s31                                  // 000000004B70: D1340004 00003F04
	global_atomic_pk_add_bf16 v4, v48, s[16:17]                // 000000004B78: DD488000 00103004
	v_add_u32_e64 v4, v4, s31                                  // 000000004B80: D1340004 00003F04
	global_atomic_pk_add_bf16 v4, v49, s[16:17]                // 000000004B88: DD488000 00103104
	v_add_u32_e64 v4, v4, s31                                  // 000000004B90: D1340004 00003F04
	s_branch label_0AA9                                        // 000000004B98: BF820202

0000000000004b9c <label_08A7>:
	v_mov_b32_e32 v5, 0                                        // 000000004B9C: 7E0A0280
	s_and_b32 s17, s17, 0xffff                                 // 000000004BA0: 8611FF11 0000FFFF
	s_cmp_lt_u32 s50, 1                                        // 000000004BA8: BF0A8132
	s_cbranch_scc0 label_093F                                  // 000000004BAC: BF840093
	v_lshrrev_b32_e32 v4, 4, v0                                // 000000004BB0: 20080084
	v_mul_u32_u24_e32 v22, 0x44, v4                            // 000000004BB4: 102C08FF 00000044
	v_and_b32_e32 v4, 15, v0                                   // 000000004BBC: 2608008F
	v_mul_lo_u32 v5, 4, v4                                     // 000000004BC0: D2850005 00020884
	v_add_u32_e32 v22, v5, v22                                 // 000000004BC8: 682C2D05
	s_mul_i32 s31, s24, 0x110                                  // 000000004BCC: 921FFF18 00000110
	v_add_u32_e32 v22, s31, v22                                // 000000004BD4: 682C2C1F
	v_lshlrev_b32_e32 v22, 2, v22                              // 000000004BD8: 242C2C82
	v_lshrrev_b32_e32 v4, 2, v0                                // 000000004BDC: 20080082
	v_mul_u32_u24_e32 v31, 0x44, v4                            // 000000004BE0: 103E08FF 00000044
	v_and_b32_e32 v4, 3, v0                                    // 000000004BE8: 26080083
	v_add_u32_e32 v31, v4, v31                                 // 000000004BEC: 683E3F04
	s_mul_i32 s31, s24, 4                                      // 000000004BF0: 921F8418
	v_add_u32_e32 v31, s31, v31                                // 000000004BF4: 683E3E1F
	v_lshlrev_b32_e32 v31, 2, v31                              // 000000004BF8: 243E3E82
	s_lshr_b32 s31, s51, 2                                     // 000000004BFC: 8F1F8233
	s_and_b32 s32, s51, 3                                      // 000000004C00: 86208333
	s_cmp_lt_u32 s24, s32                                      // 000000004C04: BF0A2018
	s_cselect_b32 s32, 1, 0                                    // 000000004C08: 85208081
	s_add_u32 s51, s31, s32                                    // 000000004C0C: 8033201F
	s_mov_b32 s33, 0                                           // 000000004C10: BEA10080
	s_waitcnt vmcnt(0) expcnt(0) lgkmcnt(0)                    // 000000004C14: BF8C0000
	s_barrier                                                  // 000000004C18: BF8A0000
	ds_write_b128 v22, v[32:35]                                // 000000004C1C: D9BE0000 00002016
	ds_write_b128 v22, v[36:39] offset:4352                    // 000000004C24: D9BE1100 00002416
	ds_write_b128 v22, v[40:43] offset:8704                    // 000000004C2C: D9BE2200 00002816
	s_waitcnt lgkmcnt(0)                                       // 000000004C34: BF8CC07F
	s_barrier                                                  // 000000004C38: BF8A0000
	ds_read_b32 v32, v31                                       // 000000004C3C: D86C0000 2000001F
	ds_read_b32 v33, v31 offset:64                             // 000000004C44: D86C0040 2100001F
	ds_read_b32 v34, v31 offset:128                            // 000000004C4C: D86C0080 2200001F
	ds_read_b32 v35, v31 offset:192                            // 000000004C54: D86C00C0 2300001F
	ds_read_b32 v36, v31 offset:4352                           // 000000004C5C: D86C1100 2400001F
	ds_read_b32 v37, v31 offset:4416                           // 000000004C64: D86C1140 2500001F
	ds_read_b32 v38, v31 offset:4480                           // 000000004C6C: D86C1180 2600001F
	ds_read_b32 v39, v31 offset:4544                           // 000000004C74: D86C11C0 2700001F
	ds_read_b32 v40, v31 offset:8704                           // 000000004C7C: D86C2200 2800001F
	ds_read_b32 v41, v31 offset:8768                           // 000000004C84: D86C2240 2900001F
	ds_read_b32 v42, v31 offset:8832                           // 000000004C8C: D86C2280 2A00001F
	ds_read_b32 v43, v31 offset:8896                           // 000000004C94: D86C22C0 2B00001F
	s_waitcnt lgkmcnt(0)                                       // 000000004C9C: BF8CC07F
	s_mul_i32 s31, s30, 4                                      // 000000004CA0: 921F841E
	v_mov_b32_e32 v4, v15                                      // 000000004CA4: 7E08030F
	s_cmp_lt_i32 s33, s51                                      // 000000004CA8: BF043321
	s_cbranch_scc0 label_0AA9                                  // 000000004CAC: BF8401BD
	global_atomic_add_f32 v4, v32, s[16:17]                    // 000000004CB0: DD348000 00102004
	v_add_u32_e64 v4, v4, s31                                  // 000000004CB8: D1340004 00003F04
	s_addk_i32 s33, 0x1                                        // 000000004CC0: B7210001
	s_cmp_lt_i32 s33, s51                                      // 000000004CC4: BF043321
	s_cbranch_scc0 label_0AA9                                  // 000000004CC8: BF8401B6
	global_atomic_add_f32 v4, v33, s[16:17]                    // 000000004CCC: DD348000 00102104
	v_add_u32_e64 v4, v4, s31                                  // 000000004CD4: D1340004 00003F04
	s_addk_i32 s33, 0x1                                        // 000000004CDC: B7210001
	s_cmp_lt_i32 s33, s51                                      // 000000004CE0: BF043321
	s_cbranch_scc0 label_0AA9                                  // 000000004CE4: BF8401AF
	global_atomic_add_f32 v4, v34, s[16:17]                    // 000000004CE8: DD348000 00102204
	v_add_u32_e64 v4, v4, s31                                  // 000000004CF0: D1340004 00003F04
	s_addk_i32 s33, 0x1                                        // 000000004CF8: B7210001
	s_cmp_lt_i32 s33, s51                                      // 000000004CFC: BF043321
	s_cbranch_scc0 label_0AA9                                  // 000000004D00: BF8401A8
	global_atomic_add_f32 v4, v35, s[16:17]                    // 000000004D04: DD348000 00102304
	v_add_u32_e64 v4, v4, s31                                  // 000000004D0C: D1340004 00003F04
	s_addk_i32 s33, 0x1                                        // 000000004D14: B7210001
	s_cmp_lt_i32 s33, s51                                      // 000000004D18: BF043321
	s_cbranch_scc0 label_0AA9                                  // 000000004D1C: BF8401A1
	global_atomic_add_f32 v4, v36, s[16:17]                    // 000000004D20: DD348000 00102404
	v_add_u32_e64 v4, v4, s31                                  // 000000004D28: D1340004 00003F04
	s_addk_i32 s33, 0x1                                        // 000000004D30: B7210001
	s_cmp_lt_i32 s33, s51                                      // 000000004D34: BF043321
	s_cbranch_scc0 label_0AA9                                  // 000000004D38: BF84019A
	global_atomic_add_f32 v4, v37, s[16:17]                    // 000000004D3C: DD348000 00102504
	v_add_u32_e64 v4, v4, s31                                  // 000000004D44: D1340004 00003F04
	s_addk_i32 s33, 0x1                                        // 000000004D4C: B7210001
	s_cmp_lt_i32 s33, s51                                      // 000000004D50: BF043321
	s_cbranch_scc0 label_0AA9                                  // 000000004D54: BF840193
	global_atomic_add_f32 v4, v38, s[16:17]                    // 000000004D58: DD348000 00102604
	v_add_u32_e64 v4, v4, s31                                  // 000000004D60: D1340004 00003F04
	s_addk_i32 s33, 0x1                                        // 000000004D68: B7210001
	s_cmp_lt_i32 s33, s51                                      // 000000004D6C: BF043321
	s_cbranch_scc0 label_0AA9                                  // 000000004D70: BF84018C
	global_atomic_add_f32 v4, v39, s[16:17]                    // 000000004D74: DD348000 00102704
	v_add_u32_e64 v4, v4, s31                                  // 000000004D7C: D1340004 00003F04
	s_addk_i32 s33, 0x1                                        // 000000004D84: B7210001
	s_cmp_lt_i32 s33, s51                                      // 000000004D88: BF043321
	s_cbranch_scc0 label_0AA9                                  // 000000004D8C: BF840185
	global_atomic_add_f32 v4, v40, s[16:17]                    // 000000004D90: DD348000 00102804
	v_add_u32_e64 v4, v4, s31                                  // 000000004D98: D1340004 00003F04
	s_addk_i32 s33, 0x1                                        // 000000004DA0: B7210001
	s_cmp_lt_i32 s33, s51                                      // 000000004DA4: BF043321
	s_cbranch_scc0 label_0AA9                                  // 000000004DA8: BF84017E
	global_atomic_add_f32 v4, v41, s[16:17]                    // 000000004DAC: DD348000 00102904
	v_add_u32_e64 v4, v4, s31                                  // 000000004DB4: D1340004 00003F04
	s_addk_i32 s33, 0x1                                        // 000000004DBC: B7210001
	s_cmp_lt_i32 s33, s51                                      // 000000004DC0: BF043321
	s_cbranch_scc0 label_0AA9                                  // 000000004DC4: BF840177
	global_atomic_add_f32 v4, v42, s[16:17]                    // 000000004DC8: DD348000 00102A04
	v_add_u32_e64 v4, v4, s31                                  // 000000004DD0: D1340004 00003F04
	s_addk_i32 s33, 0x1                                        // 000000004DD8: B7210001
	s_cmp_lt_i32 s33, s51                                      // 000000004DDC: BF043321
	s_cbranch_scc0 label_0AA9                                  // 000000004DE0: BF840170
	global_atomic_add_f32 v4, v43, s[16:17]                    // 000000004DE4: DD348000 00102B04
	v_add_u32_e64 v4, v4, s31                                  // 000000004DEC: D1340004 00003F04
	s_addk_i32 s33, 0x1                                        // 000000004DF4: B7210001
	s_branch label_0AA9                                        // 000000004DF8: BF82016A

0000000000004dfc <label_093F>:
	v_lshrrev_b32_e32 v4, 4, v0                                // 000000004DFC: 20080084
	v_mul_u32_u24_e32 v22, 34, v4                              // 000000004E00: 102C08A2
	v_and_b32_e32 v4, 15, v0                                   // 000000004E04: 2608008F
	v_mul_lo_u32 v5, 2, v4                                     // 000000004E08: D2850005 00020882
	v_add_u32_e32 v22, v5, v22                                 // 000000004E10: 682C2D05
	s_mul_i32 s31, s24, 0x88                                   // 000000004E14: 921FFF18 00000088
	v_add_u32_e32 v22, s31, v22                                // 000000004E1C: 682C2C1F
	v_lshlrev_b32_e32 v22, 2, v22                              // 000000004E20: 242C2C82
	v_and_b32_e32 v4, 31, v0                                   // 000000004E24: 2608009F
	v_lshrrev_b32_e32 v5, 1, v4                                // 000000004E28: 200A0881
	v_mul_u32_u24_e32 v31, 34, v5                              // 000000004E2C: 103E0AA2
	v_and_b32_e32 v5, 1, v4                                    // 000000004E30: 260A0881
	v_add_u32_e32 v31, v5, v31                                 // 000000004E34: 683E3F05
	v_lshrrev_b32_e32 v4, 5, v0                                // 000000004E38: 20080085
	v_mul_u32_u24_e32 v4, 8, v4                                // 000000004E3C: 10080888
	v_add_u32_e32 v31, v4, v31                                 // 000000004E40: 683E3F04
	s_mul_i32 s31, s24, 2                                      // 000000004E44: 921F8218
	v_add_u32_e32 v31, s31, v31                                // 000000004E48: 683E3E1F
	v_lshlrev_b32_e32 v31, 2, v31                              // 000000004E4C: 243E3E82
	s_lshr_b32 s31, s51, 2                                     // 000000004E50: 8F1F8233
	s_and_b32 s32, s51, 3                                      // 000000004E54: 86208333
	s_cmp_lt_u32 s24, s32                                      // 000000004E58: BF0A2018
	s_cselect_b32 s32, 1, 0                                    // 000000004E5C: 85208081
	s_add_u32 s51, s31, s32                                    // 000000004E60: 8033201F
	s_mov_b32 s33, 0                                           // 000000004E64: BEA10080
	s_waitcnt vmcnt(0) expcnt(0) lgkmcnt(0)                    // 000000004E68: BF8C0000
	s_barrier                                                  // 000000004E6C: BF8A0000
	v_cmp_u_f32_e64 s[56:57], v32, v32                         // 000000004E70: D0480038 00024120
	v_add3_u32 v8, v32, v11, 1                                 // 000000004E78: D1FF0008 02061720
	v_cndmask_b32_e64 v4, v8, v10, s[56:57]                    // 000000004E80: D1000004 00E21508
	v_cmp_u_f32_e64 s[56:57], v33, v33                         // 000000004E88: D0480038 00024321
	v_add3_u32 v8, v33, v11, 1                                 // 000000004E90: D1FF0008 02061721
	v_cndmask_b32_e64 v5, v8, v10, s[56:57]                    // 000000004E98: D1000005 00E21508
	v_perm_b32 v44, v5, v4, s35                                // 000000004EA0: D1ED002C 008E0905
	v_cmp_u_f32_e64 s[56:57], v34, v34                         // 000000004EA8: D0480038 00024522
	v_add3_u32 v8, v34, v11, 1                                 // 000000004EB0: D1FF0008 02061722
	v_cndmask_b32_e64 v4, v8, v10, s[56:57]                    // 000000004EB8: D1000004 00E21508
	v_cmp_u_f32_e64 s[56:57], v35, v35                         // 000000004EC0: D0480038 00024723
	v_add3_u32 v8, v35, v11, 1                                 // 000000004EC8: D1FF0008 02061723
	v_cndmask_b32_e64 v5, v8, v10, s[56:57]                    // 000000004ED0: D1000005 00E21508
	v_perm_b32 v45, v5, v4, s35                                // 000000004ED8: D1ED002D 008E0905
	v_cmp_u_f32_e64 s[56:57], v36, v36                         // 000000004EE0: D0480038 00024924
	v_add3_u32 v8, v36, v11, 1                                 // 000000004EE8: D1FF0008 02061724
	v_cndmask_b32_e64 v4, v8, v10, s[56:57]                    // 000000004EF0: D1000004 00E21508
	v_cmp_u_f32_e64 s[56:57], v37, v37                         // 000000004EF8: D0480038 00024B25
	v_add3_u32 v8, v37, v11, 1                                 // 000000004F00: D1FF0008 02061725
	v_cndmask_b32_e64 v5, v8, v10, s[56:57]                    // 000000004F08: D1000005 00E21508
	v_perm_b32 v46, v5, v4, s35                                // 000000004F10: D1ED002E 008E0905
	v_cmp_u_f32_e64 s[56:57], v38, v38                         // 000000004F18: D0480038 00024D26
	v_add3_u32 v8, v38, v11, 1                                 // 000000004F20: D1FF0008 02061726
	v_cndmask_b32_e64 v4, v8, v10, s[56:57]                    // 000000004F28: D1000004 00E21508
	v_cmp_u_f32_e64 s[56:57], v39, v39                         // 000000004F30: D0480038 00024F27
	v_add3_u32 v8, v39, v11, 1                                 // 000000004F38: D1FF0008 02061727
	v_cndmask_b32_e64 v5, v8, v10, s[56:57]                    // 000000004F40: D1000005 00E21508
	v_perm_b32 v47, v5, v4, s35                                // 000000004F48: D1ED002F 008E0905
	v_cmp_u_f32_e64 s[56:57], v40, v40                         // 000000004F50: D0480038 00025128
	v_add3_u32 v8, v40, v11, 1                                 // 000000004F58: D1FF0008 02061728
	v_cndmask_b32_e64 v4, v8, v10, s[56:57]                    // 000000004F60: D1000004 00E21508
	v_cmp_u_f32_e64 s[56:57], v41, v41                         // 000000004F68: D0480038 00025329
	v_add3_u32 v8, v41, v11, 1                                 // 000000004F70: D1FF0008 02061729
	v_cndmask_b32_e64 v5, v8, v10, s[56:57]                    // 000000004F78: D1000005 00E21508
	v_perm_b32 v48, v5, v4, s35                                // 000000004F80: D1ED0030 008E0905
	v_cmp_u_f32_e64 s[56:57], v42, v42                         // 000000004F88: D0480038 0002552A
	v_add3_u32 v8, v42, v11, 1                                 // 000000004F90: D1FF0008 0206172A
	v_cndmask_b32_e64 v4, v8, v10, s[56:57]                    // 000000004F98: D1000004 00E21508
	v_cmp_u_f32_e64 s[56:57], v43, v43                         // 000000004FA0: D0480038 0002572B
	v_add3_u32 v8, v43, v11, 1                                 // 000000004FA8: D1FF0008 0206172B
	v_cndmask_b32_e64 v5, v8, v10, s[56:57]                    // 000000004FB0: D1000005 00E21508
	v_perm_b32 v49, v5, v4, s35                                // 000000004FB8: D1ED0031 008E0905
	ds_write_b64 v22, v[44:45]                                 // 000000004FC0: D89A0000 00002C16
	ds_write_b64 v22, v[46:47] offset:2176                     // 000000004FC8: D89A0880 00002E16
	ds_write_b64 v22, v[48:49] offset:4352                     // 000000004FD0: D89A1100 00003016
	s_waitcnt lgkmcnt(0)                                       // 000000004FD8: BF8CC07F
	s_barrier                                                  // 000000004FDC: BF8A0000
	ds_read_b32 v44, v31                                       // 000000004FE0: D86C0000 2C00001F
	ds_read_b32 v45, v31 offset:64                             // 000000004FE8: D86C0040 2D00001F
	ds_read_b32 v46, v31 offset:2176                           // 000000004FF0: D86C0880 2E00001F
	ds_read_b32 v47, v31 offset:2240                           // 000000004FF8: D86C08C0 2F00001F
	ds_read_b32 v48, v31 offset:4352                           // 000000005000: D86C1100 3000001F
	ds_read_b32 v49, v31 offset:4416                           // 000000005008: D86C1140 3100001F
	s_waitcnt lgkmcnt(0)                                       // 000000005010: BF8CC07F
	s_mul_i32 s31, s30, 8                                      // 000000005014: 921F881E
	v_mov_b32_e32 v4, v15                                      // 000000005018: 7E08030F
	s_cmp_lt_i32 s33, s51                                      // 00000000501C: BF043321
	s_cbranch_scc0 label_0AA9                                  // 000000005020: BF8400E0
	s_mov_b32 s54, -1                                          // 000000005024: BEB600C1
	s_mov_b32 s55, 0                                           // 000000005028: BEB70080
	s_mov_b64 exec, s[54:55]                                   // 00000000502C: BEFE0136
	global_atomic_pk_add_bf16 v4, v44, s[16:17]                // 000000005030: DD488000 00102C04
	s_addk_i32 s33, 0x1                                        // 000000005038: B7210001
	s_cmp_lt_i32 s33, s51                                      // 00000000503C: BF043321
	s_cbranch_scc0 label_0AA9                                  // 000000005040: BF8400D8
	s_mov_b32 s54, 0                                           // 000000005044: BEB60080
	s_mov_b32 s55, -1                                          // 000000005048: BEB700C1
	s_mov_b64 exec, s[54:55]                                   // 00000000504C: BEFE0136
	global_atomic_pk_add_bf16 v4, v44, s[16:17]                // 000000005050: DD488000 00102C04
	s_addk_i32 s33, 0x1                                        // 000000005058: B7210001
	s_mov_b32 s54, -1                                          // 00000000505C: BEB600C1
	s_mov_b32 s55, -1                                          // 000000005060: BEB700C1
	s_mov_b64 exec, s[54:55]                                   // 000000005064: BEFE0136
	v_add_u32_e64 v4, v4, s31                                  // 000000005068: D1340004 00003F04
	s_cmp_lt_i32 s33, s51                                      // 000000005070: BF043321
	s_cbranch_scc0 label_0AA9                                  // 000000005074: BF8400CB
	s_mov_b32 s54, -1                                          // 000000005078: BEB600C1
	s_mov_b32 s55, 0                                           // 00000000507C: BEB70080
	s_mov_b64 exec, s[54:55]                                   // 000000005080: BEFE0136
	global_atomic_pk_add_bf16 v4, v45, s[16:17]                // 000000005084: DD488000 00102D04
	s_addk_i32 s33, 0x1                                        // 00000000508C: B7210001
	s_cmp_lt_i32 s33, s51                                      // 000000005090: BF043321
	s_cbranch_scc0 label_0AA9                                  // 000000005094: BF8400C3
	s_mov_b32 s54, 0                                           // 000000005098: BEB60080
	s_mov_b32 s55, -1                                          // 00000000509C: BEB700C1
	s_mov_b64 exec, s[54:55]                                   // 0000000050A0: BEFE0136
	global_atomic_pk_add_bf16 v4, v45, s[16:17]                // 0000000050A4: DD488000 00102D04
	s_addk_i32 s33, 0x1                                        // 0000000050AC: B7210001
	s_mov_b32 s54, -1                                          // 0000000050B0: BEB600C1
	s_mov_b32 s55, -1                                          // 0000000050B4: BEB700C1
	s_mov_b64 exec, s[54:55]                                   // 0000000050B8: BEFE0136
	v_add_u32_e64 v4, v4, s31                                  // 0000000050BC: D1340004 00003F04
	s_cmp_lt_i32 s33, s51                                      // 0000000050C4: BF043321
	s_cbranch_scc0 label_0AA9                                  // 0000000050C8: BF8400B6
	s_mov_b32 s54, -1                                          // 0000000050CC: BEB600C1
	s_mov_b32 s55, 0                                           // 0000000050D0: BEB70080
	s_mov_b64 exec, s[54:55]                                   // 0000000050D4: BEFE0136
	global_atomic_pk_add_bf16 v4, v46, s[16:17]                // 0000000050D8: DD488000 00102E04
	s_addk_i32 s33, 0x1                                        // 0000000050E0: B7210001
	s_cmp_lt_i32 s33, s51                                      // 0000000050E4: BF043321
	s_cbranch_scc0 label_0AA9                                  // 0000000050E8: BF8400AE
	s_mov_b32 s54, 0                                           // 0000000050EC: BEB60080
	s_mov_b32 s55, -1                                          // 0000000050F0: BEB700C1
	s_mov_b64 exec, s[54:55]                                   // 0000000050F4: BEFE0136
	global_atomic_pk_add_bf16 v4, v46, s[16:17]                // 0000000050F8: DD488000 00102E04
	s_addk_i32 s33, 0x1                                        // 000000005100: B7210001
	s_mov_b32 s54, -1                                          // 000000005104: BEB600C1
	s_mov_b32 s55, -1                                          // 000000005108: BEB700C1
	s_mov_b64 exec, s[54:55]                                   // 00000000510C: BEFE0136
	v_add_u32_e64 v4, v4, s31                                  // 000000005110: D1340004 00003F04
	s_cmp_lt_i32 s33, s51                                      // 000000005118: BF043321
	s_cbranch_scc0 label_0AA9                                  // 00000000511C: BF8400A1
	s_mov_b32 s54, -1                                          // 000000005120: BEB600C1
	s_mov_b32 s55, 0                                           // 000000005124: BEB70080
	s_mov_b64 exec, s[54:55]                                   // 000000005128: BEFE0136
	global_atomic_pk_add_bf16 v4, v47, s[16:17]                // 00000000512C: DD488000 00102F04
	s_addk_i32 s33, 0x1                                        // 000000005134: B7210001
	s_cmp_lt_i32 s33, s51                                      // 000000005138: BF043321
	s_cbranch_scc0 label_0AA9                                  // 00000000513C: BF840099
	s_mov_b32 s54, 0                                           // 000000005140: BEB60080
	s_mov_b32 s55, -1                                          // 000000005144: BEB700C1
	s_mov_b64 exec, s[54:55]                                   // 000000005148: BEFE0136
	global_atomic_pk_add_bf16 v4, v47, s[16:17]                // 00000000514C: DD488000 00102F04
	s_addk_i32 s33, 0x1                                        // 000000005154: B7210001
	s_mov_b32 s54, -1                                          // 000000005158: BEB600C1
	s_mov_b32 s55, -1                                          // 00000000515C: BEB700C1
	s_mov_b64 exec, s[54:55]                                   // 000000005160: BEFE0136
	v_add_u32_e64 v4, v4, s31                                  // 000000005164: D1340004 00003F04
	s_cmp_lt_i32 s33, s51                                      // 00000000516C: BF043321
	s_cbranch_scc0 label_0AA9                                  // 000000005170: BF84008C
	s_mov_b32 s54, -1                                          // 000000005174: BEB600C1
	s_mov_b32 s55, 0                                           // 000000005178: BEB70080
	s_mov_b64 exec, s[54:55]                                   // 00000000517C: BEFE0136
	global_atomic_pk_add_bf16 v4, v48, s[16:17]                // 000000005180: DD488000 00103004
	s_addk_i32 s33, 0x1                                        // 000000005188: B7210001
	s_cmp_lt_i32 s33, s51                                      // 00000000518C: BF043321
	s_cbranch_scc0 label_0AA9                                  // 000000005190: BF840084
	s_mov_b32 s54, 0                                           // 000000005194: BEB60080
	s_mov_b32 s55, -1                                          // 000000005198: BEB700C1
	s_mov_b64 exec, s[54:55]                                   // 00000000519C: BEFE0136
	global_atomic_pk_add_bf16 v4, v48, s[16:17]                // 0000000051A0: DD488000 00103004
	s_addk_i32 s33, 0x1                                        // 0000000051A8: B7210001
	s_mov_b32 s54, -1                                          // 0000000051AC: BEB600C1
	s_mov_b32 s55, -1                                          // 0000000051B0: BEB700C1
	s_mov_b64 exec, s[54:55]                                   // 0000000051B4: BEFE0136
	v_add_u32_e64 v4, v4, s31                                  // 0000000051B8: D1340004 00003F04
	s_cmp_lt_i32 s33, s51                                      // 0000000051C0: BF043321
	s_cbranch_scc0 label_0AA9                                  // 0000000051C4: BF840077
	s_mov_b32 s54, -1                                          // 0000000051C8: BEB600C1
	s_mov_b32 s55, 0                                           // 0000000051CC: BEB70080
	s_mov_b64 exec, s[54:55]                                   // 0000000051D0: BEFE0136
	global_atomic_pk_add_bf16 v4, v49, s[16:17]                // 0000000051D4: DD488000 00103104
	s_addk_i32 s33, 0x1                                        // 0000000051DC: B7210001
	s_cmp_lt_i32 s33, s51                                      // 0000000051E0: BF043321
	s_cbranch_scc0 label_0AA9                                  // 0000000051E4: BF84006F
	s_mov_b32 s54, 0                                           // 0000000051E8: BEB60080
	s_mov_b32 s55, -1                                          // 0000000051EC: BEB700C1
	s_mov_b64 exec, s[54:55]                                   // 0000000051F0: BEFE0136
	global_atomic_pk_add_bf16 v4, v49, s[16:17]                // 0000000051F4: DD488000 00103104
	s_addk_i32 s33, 0x1                                        // 0000000051FC: B7210001
	s_mov_b32 s54, -1                                          // 000000005200: BEB600C1
	s_mov_b32 s55, -1                                          // 000000005204: BEB700C1
	s_mov_b64 exec, s[54:55]                                   // 000000005208: BEFE0136
	v_add_u32_e64 v4, v4, s31                                  // 00000000520C: D1340004 00003F04
	s_branch label_0AA9                                        // 000000005214: BF820063

0000000000005218 <label_0A46>:
	s_cmp_lt_u32 s50, 1                                        // 000000005218: BF0A8132
	s_cbranch_scc0 label_0A4F                                  // 00000000521C: BF840007
	buffer_store_dwordx4 v[32:35], v12, s[16:19], 0 offen      // 000000005220: E07C1000 8004200C
	buffer_store_dwordx4 v[36:39], v13, s[16:19], 0 offen      // 000000005228: E07C1000 8004240D
	buffer_store_dwordx4 v[40:43], v14, s[16:19], 0 offen      // 000000005230: E07C1000 8004280E
	s_branch label_0AA9                                        // 000000005238: BF82005A

000000000000523c <label_0A4F>:
	v_cmp_u_f32_e64 s[56:57], v32, v32                         // 00000000523C: D0480038 00024120
	v_add3_u32 v8, v32, v11, 1                                 // 000000005244: D1FF0008 02061720
	v_cndmask_b32_e64 v4, v8, v10, s[56:57]                    // 00000000524C: D1000004 00E21508
	v_cmp_u_f32_e64 s[56:57], v33, v33                         // 000000005254: D0480038 00024321
	v_add3_u32 v8, v33, v11, 1                                 // 00000000525C: D1FF0008 02061721
	v_cndmask_b32_e64 v5, v8, v10, s[56:57]                    // 000000005264: D1000005 00E21508
	v_perm_b32 v44, v5, v4, s35                                // 00000000526C: D1ED002C 008E0905
	v_cmp_u_f32_e64 s[56:57], v34, v34                         // 000000005274: D0480038 00024522
	v_add3_u32 v8, v34, v11, 1                                 // 00000000527C: D1FF0008 02061722
	v_cndmask_b32_e64 v4, v8, v10, s[56:57]                    // 000000005284: D1000004 00E21508
	v_cmp_u_f32_e64 s[56:57], v35, v35                         // 00000000528C: D0480038 00024723
	v_add3_u32 v8, v35, v11, 1                                 // 000000005294: D1FF0008 02061723
	v_cndmask_b32_e64 v5, v8, v10, s[56:57]                    // 00000000529C: D1000005 00E21508
	v_perm_b32 v45, v5, v4, s35                                // 0000000052A4: D1ED002D 008E0905
	buffer_store_dwordx2 v[44:45], v12, s[16:19], 0 offen      // 0000000052AC: E0741000 80042C0C
	v_cmp_u_f32_e64 s[56:57], v36, v36                         // 0000000052B4: D0480038 00024924
	v_add3_u32 v8, v36, v11, 1                                 // 0000000052BC: D1FF0008 02061724
	v_cndmask_b32_e64 v4, v8, v10, s[56:57]                    // 0000000052C4: D1000004 00E21508
	v_cmp_u_f32_e64 s[56:57], v37, v37                         // 0000000052CC: D0480038 00024B25
	v_add3_u32 v8, v37, v11, 1                                 // 0000000052D4: D1FF0008 02061725
	v_cndmask_b32_e64 v5, v8, v10, s[56:57]                    // 0000000052DC: D1000005 00E21508
	v_perm_b32 v46, v5, v4, s35                                // 0000000052E4: D1ED002E 008E0905
	v_cmp_u_f32_e64 s[56:57], v38, v38                         // 0000000052EC: D0480038 00024D26
	v_add3_u32 v8, v38, v11, 1                                 // 0000000052F4: D1FF0008 02061726
	v_cndmask_b32_e64 v4, v8, v10, s[56:57]                    // 0000000052FC: D1000004 00E21508
	v_cmp_u_f32_e64 s[56:57], v39, v39                         // 000000005304: D0480038 00024F27
	v_add3_u32 v8, v39, v11, 1                                 // 00000000530C: D1FF0008 02061727
	v_cndmask_b32_e64 v5, v8, v10, s[56:57]                    // 000000005314: D1000005 00E21508
	v_perm_b32 v47, v5, v4, s35                                // 00000000531C: D1ED002F 008E0905
	buffer_store_dwordx2 v[46:47], v13, s[16:19], 0 offen      // 000000005324: E0741000 80042E0D
	v_cmp_u_f32_e64 s[56:57], v40, v40                         // 00000000532C: D0480038 00025128
	v_add3_u32 v8, v40, v11, 1                                 // 000000005334: D1FF0008 02061728
	v_cndmask_b32_e64 v4, v8, v10, s[56:57]                    // 00000000533C: D1000004 00E21508
	v_cmp_u_f32_e64 s[56:57], v41, v41                         // 000000005344: D0480038 00025329
	v_add3_u32 v8, v41, v11, 1                                 // 00000000534C: D1FF0008 02061729
	v_cndmask_b32_e64 v5, v8, v10, s[56:57]                    // 000000005354: D1000005 00E21508
	v_perm_b32 v48, v5, v4, s35                                // 00000000535C: D1ED0030 008E0905
	v_cmp_u_f32_e64 s[56:57], v42, v42                         // 000000005364: D0480038 0002552A
	v_add3_u32 v8, v42, v11, 1                                 // 00000000536C: D1FF0008 0206172A
	v_cndmask_b32_e64 v4, v8, v10, s[56:57]                    // 000000005374: D1000004 00E21508
	v_cmp_u_f32_e64 s[56:57], v43, v43                         // 00000000537C: D0480038 0002572B
	v_add3_u32 v8, v43, v11, 1                                 // 000000005384: D1FF0008 0206172B
	v_cndmask_b32_e64 v5, v8, v10, s[56:57]                    // 00000000538C: D1000005 00E21508
	v_perm_b32 v49, v5, v4, s35                                // 000000005394: D1ED0031 008E0905
	buffer_store_dwordx2 v[48:49], v14, s[16:19], 0 offen      // 00000000539C: E0741000 8004300E

00000000000053a4 <label_0AA9>:
	s_waitcnt vmcnt(0) expcnt(0) lgkmcnt(0)                    // 0000000053A4: BF8C0000
	s_endpgm                                                   // 0000000053A8: BF810000
